;; amdgpu-corpus repo=ParRes/Kernels kind=compiled arch=gfx906 opt=O3
	.text
	.amdgcn_target "amdgcn-amd-amdhsa--gfx906"
	.amdhsa_code_object_version 6
	.protected	_Z5star1iPKdPd          ; -- Begin function _Z5star1iPKdPd
	.globl	_Z5star1iPKdPd
	.p2align	8
	.type	_Z5star1iPKdPd,@function
_Z5star1iPKdPd:                         ; @_Z5star1iPKdPd
; %bb.0:
	s_load_dword s0, s[4:5], 0x24
	s_load_dword s8, s[4:5], 0x0
	s_waitcnt lgkmcnt(0)
	s_lshr_b32 s1, s0, 16
	s_and_b32 s0, s0, 0xffff
	s_mul_i32 s6, s6, s0
	s_mul_i32 s7, s7, s1
	v_add_u32_e32 v2, s6, v0
	v_add_u32_e32 v0, s7, v1
	s_add_i32 s0, s8, -1
	v_max_i32_e32 v1, v2, v0
	v_cmp_gt_i32_e32 vcc, s0, v1
	v_min_i32_e32 v1, v0, v2
	v_cmp_lt_i32_e64 s[0:1], 0, v1
	s_and_b64 s[0:1], s[0:1], vcc
	s_and_saveexec_b64 s[2:3], s[0:1]
	s_cbranch_execz .LBB0_2
; %bb.1:
	v_mul_lo_u32 v14, v2, s8
	v_ashrrev_i32_e32 v2, 31, v0
	s_load_dwordx4 s[0:3], s[4:5], 0x8
	v_ashrrev_i32_e32 v3, 31, v14
	v_add_co_u32_e32 v1, vcc, v0, v14
	v_addc_co_u32_e32 v2, vcc, v2, v3, vcc
	v_subrev_u32_e32 v3, s8, v14
	v_add_u32_e32 v3, v3, v0
	v_ashrrev_i32_e32 v4, 31, v3
	v_lshlrev_b64 v[4:5], 3, v[3:4]
	s_waitcnt lgkmcnt(0)
	v_mov_b32_e32 v6, s1
	v_add_co_u32_e32 v4, vcc, s0, v4
	v_addc_co_u32_e32 v5, vcc, v6, v5, vcc
	global_load_dwordx2 v[4:5], v[4:5], off
	v_lshlrev_b64 v[1:2], 3, v[1:2]
	v_lshl_add_u32 v8, s8, 1, v3
	v_add_co_u32_e32 v1, vcc, s0, v1
	v_addc_co_u32_e32 v2, vcc, v6, v2, vcc
	global_load_dwordx2 v[6:7], v[1:2], off offset:-8
	v_ashrrev_i32_e32 v9, 31, v8
	v_lshlrev_b64 v[8:9], 3, v[8:9]
	v_mov_b32_e32 v3, s1
	v_add_co_u32_e32 v8, vcc, s0, v8
	v_addc_co_u32_e32 v9, vcc, v3, v9, vcc
	global_load_dwordx2 v[10:11], v[8:9], off
	global_load_dwordx2 v[12:13], v[1:2], off offset:8
	v_add_u32_e32 v0, v14, v0
	v_ashrrev_i32_e32 v1, 31, v0
	v_lshlrev_b64 v[0:1], 3, v[0:1]
	v_mov_b32_e32 v2, s3
	v_add_co_u32_e32 v0, vcc, s2, v0
	v_addc_co_u32_e32 v1, vcc, v2, v1, vcc
	global_load_dwordx2 v[2:3], v[0:1], off
	s_waitcnt vmcnt(4)
	v_mul_f64 v[4:5], v[4:5], -0.5
	s_waitcnt vmcnt(3)
	v_fma_f64 v[4:5], v[6:7], -0.5, v[4:5]
	s_waitcnt vmcnt(2)
	v_fma_f64 v[4:5], v[10:11], 0.5, v[4:5]
	s_waitcnt vmcnt(1)
	v_fma_f64 v[4:5], v[12:13], 0.5, v[4:5]
	s_waitcnt vmcnt(0)
	v_add_f64 v[2:3], v[2:3], v[4:5]
	global_store_dwordx2 v[0:1], v[2:3], off
.LBB0_2:
	s_endpgm
	.section	.rodata,"a",@progbits
	.p2align	6, 0x0
	.amdhsa_kernel _Z5star1iPKdPd
		.amdhsa_group_segment_fixed_size 0
		.amdhsa_private_segment_fixed_size 0
		.amdhsa_kernarg_size 280
		.amdhsa_user_sgpr_count 6
		.amdhsa_user_sgpr_private_segment_buffer 1
		.amdhsa_user_sgpr_dispatch_ptr 0
		.amdhsa_user_sgpr_queue_ptr 0
		.amdhsa_user_sgpr_kernarg_segment_ptr 1
		.amdhsa_user_sgpr_dispatch_id 0
		.amdhsa_user_sgpr_flat_scratch_init 0
		.amdhsa_user_sgpr_private_segment_size 0
		.amdhsa_uses_dynamic_stack 0
		.amdhsa_system_sgpr_private_segment_wavefront_offset 0
		.amdhsa_system_sgpr_workgroup_id_x 1
		.amdhsa_system_sgpr_workgroup_id_y 1
		.amdhsa_system_sgpr_workgroup_id_z 0
		.amdhsa_system_sgpr_workgroup_info 0
		.amdhsa_system_vgpr_workitem_id 1
		.amdhsa_next_free_vgpr 15
		.amdhsa_next_free_sgpr 9
		.amdhsa_reserve_vcc 1
		.amdhsa_reserve_flat_scratch 0
		.amdhsa_float_round_mode_32 0
		.amdhsa_float_round_mode_16_64 0
		.amdhsa_float_denorm_mode_32 3
		.amdhsa_float_denorm_mode_16_64 3
		.amdhsa_dx10_clamp 1
		.amdhsa_ieee_mode 1
		.amdhsa_fp16_overflow 0
		.amdhsa_exception_fp_ieee_invalid_op 0
		.amdhsa_exception_fp_denorm_src 0
		.amdhsa_exception_fp_ieee_div_zero 0
		.amdhsa_exception_fp_ieee_overflow 0
		.amdhsa_exception_fp_ieee_underflow 0
		.amdhsa_exception_fp_ieee_inexact 0
		.amdhsa_exception_int_div_zero 0
	.end_amdhsa_kernel
	.text
.Lfunc_end0:
	.size	_Z5star1iPKdPd, .Lfunc_end0-_Z5star1iPKdPd
                                        ; -- End function
	.section	.AMDGPU.csdata,"",@progbits
; Kernel info:
; codeLenInByte = 340
; NumSgprs: 13
; NumVgprs: 15
; ScratchSize: 0
; MemoryBound: 0
; FloatMode: 240
; IeeeMode: 1
; LDSByteSize: 0 bytes/workgroup (compile time only)
; SGPRBlocks: 1
; VGPRBlocks: 3
; NumSGPRsForWavesPerEU: 13
; NumVGPRsForWavesPerEU: 15
; Occupancy: 8
; WaveLimiterHint : 0
; COMPUTE_PGM_RSRC2:SCRATCH_EN: 0
; COMPUTE_PGM_RSRC2:USER_SGPR: 6
; COMPUTE_PGM_RSRC2:TRAP_HANDLER: 0
; COMPUTE_PGM_RSRC2:TGID_X_EN: 1
; COMPUTE_PGM_RSRC2:TGID_Y_EN: 1
; COMPUTE_PGM_RSRC2:TGID_Z_EN: 0
; COMPUTE_PGM_RSRC2:TIDIG_COMP_CNT: 1
	.text
	.protected	_Z5star2iPKdPd          ; -- Begin function _Z5star2iPKdPd
	.globl	_Z5star2iPKdPd
	.p2align	8
	.type	_Z5star2iPKdPd,@function
_Z5star2iPKdPd:                         ; @_Z5star2iPKdPd
; %bb.0:
	s_load_dword s0, s[4:5], 0x24
	s_load_dword s8, s[4:5], 0x0
	s_waitcnt lgkmcnt(0)
	s_lshr_b32 s1, s0, 16
	s_and_b32 s0, s0, 0xffff
	s_mul_i32 s6, s6, s0
	s_mul_i32 s7, s7, s1
	v_add_u32_e32 v2, s6, v0
	v_add_u32_e32 v0, s7, v1
	s_add_i32 s0, s8, -2
	v_max_i32_e32 v1, v2, v0
	v_cmp_gt_i32_e32 vcc, s0, v1
	v_min_i32_e32 v1, v0, v2
	v_cmp_lt_i32_e64 s[0:1], 1, v1
	s_and_b64 s[0:1], s[0:1], vcc
	s_and_saveexec_b64 s[2:3], s[0:1]
	s_cbranch_execz .LBB1_2
; %bb.1:
	v_mul_lo_u32 v21, v2, s8
	s_load_dwordx4 s[0:3], s[4:5], 0x8
	v_ashrrev_i32_e32 v2, 31, v0
	s_lshl_b32 s4, s8, 1
	v_ashrrev_i32_e32 v3, 31, v21
	v_add_co_u32_e32 v1, vcc, v0, v21
	v_addc_co_u32_e32 v2, vcc, v2, v3, vcc
	v_lshlrev_b64 v[1:2], 3, v[1:2]
	s_waitcnt lgkmcnt(0)
	v_mov_b32_e32 v3, s1
	v_add_co_u32_e32 v9, vcc, s0, v1
	v_addc_co_u32_e32 v10, vcc, v3, v2, vcc
	global_load_dwordx4 v[1:4], v[9:10], off offset:-16
	v_subrev_u32_e32 v5, s4, v21
	v_add_u32_e32 v5, v5, v0
	v_ashrrev_i32_e32 v6, 31, v5
	v_lshlrev_b64 v[6:7], 3, v[5:6]
	v_mov_b32_e32 v8, s1
	v_add_co_u32_e32 v6, vcc, s0, v6
	v_addc_co_u32_e32 v7, vcc, v8, v7, vcc
	global_load_dwordx2 v[11:12], v[6:7], off
	v_add_u32_e32 v5, s8, v5
	v_ashrrev_i32_e32 v6, 31, v5
	v_lshlrev_b64 v[6:7], 3, v[5:6]
	v_add_u32_e32 v5, s4, v5
	v_add_co_u32_e32 v6, vcc, s0, v6
	v_addc_co_u32_e32 v7, vcc, v8, v7, vcc
	global_load_dwordx2 v[13:14], v[6:7], off
	v_ashrrev_i32_e32 v6, 31, v5
	v_lshlrev_b64 v[6:7], 3, v[5:6]
	v_add_u32_e32 v5, s8, v5
	v_add_co_u32_e32 v6, vcc, s0, v6
	v_addc_co_u32_e32 v7, vcc, v8, v7, vcc
	global_load_dwordx2 v[15:16], v[6:7], off
	v_ashrrev_i32_e32 v6, 31, v5
	v_lshlrev_b64 v[5:6], 3, v[5:6]
	v_mov_b32_e32 v7, s1
	v_add_co_u32_e32 v17, vcc, s0, v5
	v_addc_co_u32_e32 v18, vcc, v7, v6, vcc
	global_load_dwordx2 v[19:20], v[17:18], off
	global_load_dwordx4 v[5:8], v[9:10], off offset:8
	v_add_u32_e32 v9, v21, v0
	v_ashrrev_i32_e32 v10, 31, v9
	v_lshlrev_b64 v[9:10], 3, v[9:10]
	v_mov_b32_e32 v0, s3
	v_add_co_u32_e32 v9, vcc, s2, v9
	v_addc_co_u32_e32 v10, vcc, v0, v10, vcc
	global_load_dwordx2 v[17:18], v[9:10], off
	s_mov_b32 s0, 0
	s_mov_b32 s1, 0xbfc00000
	;; [unrolled: 1-line block ×4, first 2 shown]
	s_waitcnt vmcnt(6)
	v_ldexp_f64 v[3:4], -v[3:4], -2
	v_fma_f64 v[0:1], v[1:2], s[0:1], v[3:4]
	s_waitcnt vmcnt(5)
	v_fma_f64 v[0:1], v[11:12], s[0:1], v[0:1]
	s_mov_b32 s0, 0
	s_mov_b32 s1, 0xbfd00000
	s_waitcnt vmcnt(4)
	v_fma_f64 v[0:1], v[13:14], s[0:1], v[0:1]
	s_mov_b32 s0, 0
	s_mov_b32 s1, 0x3fd00000
	s_waitcnt vmcnt(3)
	v_fma_f64 v[0:1], v[15:16], s[0:1], v[0:1]
	s_waitcnt vmcnt(2)
	v_fma_f64 v[0:1], v[19:20], s[2:3], v[0:1]
	;; [unrolled: 2-line block ×3, first 2 shown]
	v_fma_f64 v[0:1], v[7:8], s[2:3], v[0:1]
	s_waitcnt vmcnt(0)
	v_add_f64 v[0:1], v[17:18], v[0:1]
	global_store_dwordx2 v[9:10], v[0:1], off
.LBB1_2:
	s_endpgm
	.section	.rodata,"a",@progbits
	.p2align	6, 0x0
	.amdhsa_kernel _Z5star2iPKdPd
		.amdhsa_group_segment_fixed_size 0
		.amdhsa_private_segment_fixed_size 0
		.amdhsa_kernarg_size 280
		.amdhsa_user_sgpr_count 6
		.amdhsa_user_sgpr_private_segment_buffer 1
		.amdhsa_user_sgpr_dispatch_ptr 0
		.amdhsa_user_sgpr_queue_ptr 0
		.amdhsa_user_sgpr_kernarg_segment_ptr 1
		.amdhsa_user_sgpr_dispatch_id 0
		.amdhsa_user_sgpr_flat_scratch_init 0
		.amdhsa_user_sgpr_private_segment_size 0
		.amdhsa_uses_dynamic_stack 0
		.amdhsa_system_sgpr_private_segment_wavefront_offset 0
		.amdhsa_system_sgpr_workgroup_id_x 1
		.amdhsa_system_sgpr_workgroup_id_y 1
		.amdhsa_system_sgpr_workgroup_id_z 0
		.amdhsa_system_sgpr_workgroup_info 0
		.amdhsa_system_vgpr_workitem_id 1
		.amdhsa_next_free_vgpr 22
		.amdhsa_next_free_sgpr 9
		.amdhsa_reserve_vcc 1
		.amdhsa_reserve_flat_scratch 0
		.amdhsa_float_round_mode_32 0
		.amdhsa_float_round_mode_16_64 0
		.amdhsa_float_denorm_mode_32 3
		.amdhsa_float_denorm_mode_16_64 3
		.amdhsa_dx10_clamp 1
		.amdhsa_ieee_mode 1
		.amdhsa_fp16_overflow 0
		.amdhsa_exception_fp_ieee_invalid_op 0
		.amdhsa_exception_fp_denorm_src 0
		.amdhsa_exception_fp_ieee_div_zero 0
		.amdhsa_exception_fp_ieee_overflow 0
		.amdhsa_exception_fp_ieee_underflow 0
		.amdhsa_exception_fp_ieee_inexact 0
		.amdhsa_exception_int_div_zero 0
	.end_amdhsa_kernel
	.text
.Lfunc_end1:
	.size	_Z5star2iPKdPd, .Lfunc_end1-_Z5star2iPKdPd
                                        ; -- End function
	.section	.AMDGPU.csdata,"",@progbits
; Kernel info:
; codeLenInByte = 496
; NumSgprs: 13
; NumVgprs: 22
; ScratchSize: 0
; MemoryBound: 0
; FloatMode: 240
; IeeeMode: 1
; LDSByteSize: 0 bytes/workgroup (compile time only)
; SGPRBlocks: 1
; VGPRBlocks: 5
; NumSGPRsForWavesPerEU: 13
; NumVGPRsForWavesPerEU: 22
; Occupancy: 8
; WaveLimiterHint : 0
; COMPUTE_PGM_RSRC2:SCRATCH_EN: 0
; COMPUTE_PGM_RSRC2:USER_SGPR: 6
; COMPUTE_PGM_RSRC2:TRAP_HANDLER: 0
; COMPUTE_PGM_RSRC2:TGID_X_EN: 1
; COMPUTE_PGM_RSRC2:TGID_Y_EN: 1
; COMPUTE_PGM_RSRC2:TGID_Z_EN: 0
; COMPUTE_PGM_RSRC2:TIDIG_COMP_CNT: 1
	.text
	.protected	_Z5star3iPKdPd          ; -- Begin function _Z5star3iPKdPd
	.globl	_Z5star3iPKdPd
	.p2align	8
	.type	_Z5star3iPKdPd,@function
_Z5star3iPKdPd:                         ; @_Z5star3iPKdPd
; %bb.0:
	s_load_dword s0, s[4:5], 0x24
	s_load_dword s8, s[4:5], 0x0
	s_waitcnt lgkmcnt(0)
	s_lshr_b32 s1, s0, 16
	s_and_b32 s0, s0, 0xffff
	s_mul_i32 s6, s6, s0
	s_mul_i32 s7, s7, s1
	v_add_u32_e32 v0, s6, v0
	v_add_u32_e32 v8, s7, v1
	s_add_i32 s0, s8, -3
	v_max_i32_e32 v1, v0, v8
	v_cmp_gt_i32_e32 vcc, s0, v1
	v_min_i32_e32 v1, v8, v0
	v_cmp_lt_i32_e64 s[0:1], 2, v1
	s_and_b64 s[0:1], s[0:1], vcc
	s_and_saveexec_b64 s[2:3], s[0:1]
	s_cbranch_execz .LBB2_2
; %bb.1:
	v_mul_lo_u32 v9, v0, s8
	s_load_dwordx4 s[0:3], s[4:5], 0x8
	v_ashrrev_i32_e32 v1, 31, v8
	s_mov_b32 s7, 0xbfc55555
	v_ashrrev_i32_e32 v2, 31, v9
	v_add_co_u32_e32 v0, vcc, v8, v9
	v_addc_co_u32_e32 v1, vcc, v1, v2, vcc
	v_lshlrev_b64 v[0:1], 3, v[0:1]
	s_waitcnt lgkmcnt(0)
	v_mov_b32_e32 v2, s1
	v_add_co_u32_e32 v6, vcc, s0, v0
	v_addc_co_u32_e32 v7, vcc, v2, v1, vcc
	global_load_dwordx4 v[0:3], v[6:7], off offset:-24
	global_load_dwordx2 v[4:5], v[6:7], off offset:-8
	v_add_u32_e32 v8, v9, v8
	v_mad_u64_u32 v[9:10], s[4:5], s8, -3, v[8:9]
	v_mov_b32_e32 v12, s1
	v_mov_b32_e32 v13, s1
	v_ashrrev_i32_e32 v10, 31, v9
	v_lshlrev_b64 v[10:11], 3, v[9:10]
	v_add_u32_e32 v9, s8, v9
	v_add_co_u32_e32 v10, vcc, s0, v10
	v_addc_co_u32_e32 v11, vcc, v12, v11, vcc
	global_load_dwordx2 v[14:15], v[10:11], off
	v_ashrrev_i32_e32 v10, 31, v9
	v_lshlrev_b64 v[10:11], 3, v[9:10]
	v_add_u32_e32 v9, s8, v9
	v_add_co_u32_e32 v10, vcc, s0, v10
	v_addc_co_u32_e32 v11, vcc, v13, v11, vcc
	global_load_dwordx2 v[16:17], v[10:11], off
	v_ashrrev_i32_e32 v10, 31, v9
	v_lshlrev_b64 v[10:11], 3, v[9:10]
	v_mov_b32_e32 v18, s1
	v_add_co_u32_e32 v10, vcc, s0, v10
	v_addc_co_u32_e32 v11, vcc, v18, v11, vcc
	global_load_dwordx2 v[18:19], v[10:11], off
	v_lshl_add_u32 v9, s8, 1, v9
	v_ashrrev_i32_e32 v10, 31, v9
	v_lshlrev_b64 v[10:11], 3, v[9:10]
	v_mov_b32_e32 v20, s1
	v_add_co_u32_e32 v10, vcc, s0, v10
	v_addc_co_u32_e32 v11, vcc, v20, v11, vcc
	global_load_dwordx2 v[20:21], v[10:11], off
	v_add_u32_e32 v9, s8, v9
	v_ashrrev_i32_e32 v10, 31, v9
	v_lshlrev_b64 v[10:11], 3, v[9:10]
	v_mov_b32_e32 v22, s1
	v_add_co_u32_e32 v10, vcc, s0, v10
	v_addc_co_u32_e32 v11, vcc, v22, v11, vcc
	global_load_dwordx2 v[22:23], v[10:11], off
	v_add_u32_e32 v9, s8, v9
	v_ashrrev_i32_e32 v10, 31, v9
	v_lshlrev_b64 v[9:10], 3, v[9:10]
	v_mov_b32_e32 v25, s1
	v_add_co_u32_e32 v24, vcc, s0, v9
	v_addc_co_u32_e32 v25, vcc, v25, v10, vcc
	global_load_dwordx2 v[26:27], v[24:25], off
	global_load_dwordx4 v[10:13], v[6:7], off offset:8
	s_mov_b32 s1, 0xbfb55555
	s_mov_b32 s0, 0x55555555
	;; [unrolled: 1-line block ×4, first 2 shown]
	global_load_dwordx2 v[6:7], v[6:7], off offset:24
	v_ashrrev_i32_e32 v9, 31, v8
	v_mov_b32_e32 v24, s3
	s_mov_b32 s6, s0
	s_mov_b32 s3, 0x3fb55555
	s_waitcnt vmcnt(9)
	v_mul_f64 v[2:3], v[2:3], s[0:1]
	v_fma_f64 v[0:1], v[0:1], s[4:5], v[2:3]
	v_lshlrev_b64 v[2:3], 3, v[8:9]
	v_add_co_u32_e32 v2, vcc, s2, v2
	v_addc_co_u32_e32 v3, vcc, v24, v3, vcc
	s_mov_b32 s2, s0
	s_waitcnt vmcnt(8)
	v_fma_f64 v[0:1], v[4:5], s[6:7], v[0:1]
	global_load_dwordx2 v[4:5], v[2:3], off
	s_waitcnt vmcnt(8)
	v_fma_f64 v[0:1], v[14:15], s[4:5], v[0:1]
	s_mov_b32 s5, 0x3fac71c7
	s_waitcnt vmcnt(7)
	v_fma_f64 v[0:1], v[16:17], s[0:1], v[0:1]
	s_mov_b32 s1, 0x3fc55555
	s_waitcnt vmcnt(6)
	v_fma_f64 v[0:1], v[18:19], s[6:7], v[0:1]
	s_waitcnt vmcnt(5)
	v_fma_f64 v[0:1], v[20:21], s[0:1], v[0:1]
	;; [unrolled: 2-line block ×5, first 2 shown]
	v_fma_f64 v[0:1], v[12:13], s[2:3], v[0:1]
	s_waitcnt vmcnt(1)
	v_fma_f64 v[0:1], v[6:7], s[4:5], v[0:1]
	s_waitcnt vmcnt(0)
	v_add_f64 v[0:1], v[4:5], v[0:1]
	global_store_dwordx2 v[2:3], v[0:1], off
.LBB2_2:
	s_endpgm
	.section	.rodata,"a",@progbits
	.p2align	6, 0x0
	.amdhsa_kernel _Z5star3iPKdPd
		.amdhsa_group_segment_fixed_size 0
		.amdhsa_private_segment_fixed_size 0
		.amdhsa_kernarg_size 280
		.amdhsa_user_sgpr_count 6
		.amdhsa_user_sgpr_private_segment_buffer 1
		.amdhsa_user_sgpr_dispatch_ptr 0
		.amdhsa_user_sgpr_queue_ptr 0
		.amdhsa_user_sgpr_kernarg_segment_ptr 1
		.amdhsa_user_sgpr_dispatch_id 0
		.amdhsa_user_sgpr_flat_scratch_init 0
		.amdhsa_user_sgpr_private_segment_size 0
		.amdhsa_uses_dynamic_stack 0
		.amdhsa_system_sgpr_private_segment_wavefront_offset 0
		.amdhsa_system_sgpr_workgroup_id_x 1
		.amdhsa_system_sgpr_workgroup_id_y 1
		.amdhsa_system_sgpr_workgroup_id_z 0
		.amdhsa_system_sgpr_workgroup_info 0
		.amdhsa_system_vgpr_workitem_id 1
		.amdhsa_next_free_vgpr 28
		.amdhsa_next_free_sgpr 9
		.amdhsa_reserve_vcc 1
		.amdhsa_reserve_flat_scratch 0
		.amdhsa_float_round_mode_32 0
		.amdhsa_float_round_mode_16_64 0
		.amdhsa_float_denorm_mode_32 3
		.amdhsa_float_denorm_mode_16_64 3
		.amdhsa_dx10_clamp 1
		.amdhsa_ieee_mode 1
		.amdhsa_fp16_overflow 0
		.amdhsa_exception_fp_ieee_invalid_op 0
		.amdhsa_exception_fp_denorm_src 0
		.amdhsa_exception_fp_ieee_div_zero 0
		.amdhsa_exception_fp_ieee_overflow 0
		.amdhsa_exception_fp_ieee_underflow 0
		.amdhsa_exception_fp_ieee_inexact 0
		.amdhsa_exception_int_div_zero 0
	.end_amdhsa_kernel
	.text
.Lfunc_end2:
	.size	_Z5star3iPKdPd, .Lfunc_end2-_Z5star3iPKdPd
                                        ; -- End function
	.section	.AMDGPU.csdata,"",@progbits
; Kernel info:
; codeLenInByte = 664
; NumSgprs: 13
; NumVgprs: 28
; ScratchSize: 0
; MemoryBound: 0
; FloatMode: 240
; IeeeMode: 1
; LDSByteSize: 0 bytes/workgroup (compile time only)
; SGPRBlocks: 1
; VGPRBlocks: 6
; NumSGPRsForWavesPerEU: 13
; NumVGPRsForWavesPerEU: 28
; Occupancy: 8
; WaveLimiterHint : 0
; COMPUTE_PGM_RSRC2:SCRATCH_EN: 0
; COMPUTE_PGM_RSRC2:USER_SGPR: 6
; COMPUTE_PGM_RSRC2:TRAP_HANDLER: 0
; COMPUTE_PGM_RSRC2:TGID_X_EN: 1
; COMPUTE_PGM_RSRC2:TGID_Y_EN: 1
; COMPUTE_PGM_RSRC2:TGID_Z_EN: 0
; COMPUTE_PGM_RSRC2:TIDIG_COMP_CNT: 1
	.text
	.protected	_Z5star4iPKdPd          ; -- Begin function _Z5star4iPKdPd
	.globl	_Z5star4iPKdPd
	.p2align	8
	.type	_Z5star4iPKdPd,@function
_Z5star4iPKdPd:                         ; @_Z5star4iPKdPd
; %bb.0:
	s_load_dword s0, s[4:5], 0x24
	s_load_dword s8, s[4:5], 0x0
	s_waitcnt lgkmcnt(0)
	s_lshr_b32 s1, s0, 16
	s_and_b32 s0, s0, 0xffff
	s_mul_i32 s6, s6, s0
	s_mul_i32 s7, s7, s1
	v_add_u32_e32 v0, s6, v0
	v_add_u32_e32 v6, s7, v1
	s_add_i32 s0, s8, -4
	v_max_i32_e32 v1, v0, v6
	v_cmp_gt_i32_e32 vcc, s0, v1
	v_min_i32_e32 v1, v6, v0
	v_cmp_lt_i32_e64 s[0:1], 3, v1
	s_and_b64 s[0:1], s[0:1], vcc
	s_and_saveexec_b64 s[2:3], s[0:1]
	s_cbranch_execz .LBB3_2
; %bb.1:
	v_mul_lo_u32 v7, v0, s8
	s_load_dwordx4 s[0:3], s[4:5], 0x8
	v_ashrrev_i32_e32 v1, 31, v6
	s_lshl_b32 s6, s8, 2
	v_ashrrev_i32_e32 v2, 31, v7
	v_add_co_u32_e32 v0, vcc, v6, v7
	v_addc_co_u32_e32 v1, vcc, v1, v2, vcc
	v_lshlrev_b64 v[0:1], 3, v[0:1]
	s_waitcnt lgkmcnt(0)
	v_mov_b32_e32 v2, s1
	v_add_co_u32_e32 v4, vcc, s0, v0
	v_addc_co_u32_e32 v5, vcc, v2, v1, vcc
	global_load_dwordx4 v[0:3], v[4:5], off offset:-32
	v_subrev_u32_e32 v8, s6, v7
	v_add_u32_e32 v8, v8, v6
	v_ashrrev_i32_e32 v9, 31, v8
	v_add_u32_e32 v10, s8, v8
	v_lshlrev_b64 v[8:9], 3, v[8:9]
	v_ashrrev_i32_e32 v11, 31, v10
	v_mov_b32_e32 v15, s1
	v_add_u32_e32 v12, s8, v10
	v_lshlrev_b64 v[10:11], 3, v[10:11]
	v_add_co_u32_e32 v8, vcc, s0, v8
	v_ashrrev_i32_e32 v13, 31, v12
	v_addc_co_u32_e32 v9, vcc, v15, v9, vcc
	v_mov_b32_e32 v17, s1
	v_add_u32_e32 v14, s8, v12
	v_lshlrev_b64 v[12:13], 3, v[12:13]
	v_add_co_u32_e32 v10, vcc, s0, v10
	v_ashrrev_i32_e32 v15, 31, v14
	v_addc_co_u32_e32 v11, vcc, v17, v11, vcc
	v_mov_b32_e32 v19, s1
	v_lshl_add_u32 v16, s8, 1, v14
	v_lshlrev_b64 v[14:15], 3, v[14:15]
	v_add_co_u32_e32 v12, vcc, s0, v12
	v_ashrrev_i32_e32 v17, 31, v16
	v_addc_co_u32_e32 v13, vcc, v19, v13, vcc
	v_mov_b32_e32 v20, s1
	v_add_u32_e32 v18, s8, v16
	v_lshlrev_b64 v[16:17], 3, v[16:17]
	v_add_co_u32_e32 v14, vcc, s0, v14
	s_mov_b32 s5, 0xbfa55555
	s_mov_b32 s4, 0x55555555
	v_ashrrev_i32_e32 v19, 31, v18
	v_addc_co_u32_e32 v15, vcc, v20, v15, vcc
	v_mov_b32_e32 v22, s1
	v_add_u32_e32 v20, s8, v18
	v_lshlrev_b64 v[18:19], 3, v[18:19]
	v_add_co_u32_e32 v16, vcc, s0, v16
	v_ashrrev_i32_e32 v21, 31, v20
	v_addc_co_u32_e32 v17, vcc, v22, v17, vcc
	v_mov_b32_e32 v23, s1
	v_add_co_u32_e32 v18, vcc, s0, v18
	v_add_u32_e32 v22, s8, v20
	v_lshlrev_b64 v[20:21], 3, v[20:21]
	v_addc_co_u32_e32 v19, vcc, v23, v19, vcc
	v_ashrrev_i32_e32 v23, 31, v22
	v_mov_b32_e32 v24, s1
	v_lshlrev_b64 v[22:23], 3, v[22:23]
	v_add_co_u32_e32 v20, vcc, s0, v20
	v_addc_co_u32_e32 v21, vcc, v24, v21, vcc
	v_mov_b32_e32 v25, s1
	v_add_co_u32_e32 v22, vcc, s0, v22
	s_mov_b32 s0, 0
	s_mov_b32 s1, 0xbfa00000
	v_addc_co_u32_e32 v23, vcc, v25, v23, vcc
	s_mov_b32 s6, 0
	s_mov_b32 s7, 0xbfb00000
	;; [unrolled: 1-line block ×4, first 2 shown]
	s_waitcnt vmcnt(0)
	v_mul_f64 v[2:3], v[2:3], s[4:5]
	v_fma_f64 v[24:25], v[0:1], s[0:1], v[2:3]
	global_load_dwordx4 v[0:3], v[4:5], off offset:-16
	global_load_dwordx2 v[26:27], v[8:9], off
	global_load_dwordx2 v[28:29], v[10:11], off
	global_load_dwordx2 v[30:31], v[12:13], off
                                        ; kill: killed $vgpr12 killed $vgpr13
                                        ; kill: killed $vgpr8 killed $vgpr9
                                        ; kill: killed $vgpr10 killed $vgpr11
	s_nop 0
	global_load_dwordx2 v[12:13], v[14:15], off
	global_load_dwordx2 v[32:33], v[16:17], off
	;; [unrolled: 1-line block ×3, first 2 shown]
                                        ; kill: killed $vgpr14 killed $vgpr15
                                        ; kill: killed $vgpr18 killed $vgpr19
                                        ; kill: killed $vgpr16 killed $vgpr17
	s_nop 0
	global_load_dwordx2 v[14:15], v[20:21], off
	global_load_dwordx2 v[16:17], v[22:23], off
	s_waitcnt vmcnt(8)
	v_fma_f64 v[0:1], v[0:1], s[6:7], v[24:25]
	v_fma_f64 v[8:9], v[2:3], s[8:9], v[0:1]
	global_load_dwordx4 v[0:3], v[4:5], off offset:8
	s_waitcnt vmcnt(8)
	v_fma_f64 v[18:19], v[26:27], s[0:1], v[8:9]
	global_load_dwordx4 v[8:11], v[4:5], off offset:24
	v_add_u32_e32 v4, v7, v6
	v_ashrrev_i32_e32 v5, 31, v4
	v_lshlrev_b64 v[4:5], 3, v[4:5]
	s_mov_b32 s0, 0
	v_add_co_u32_e32 v4, vcc, s2, v4
	s_waitcnt vmcnt(8)
	v_fma_f64 v[6:7], v[28:29], s[4:5], v[18:19]
	v_mov_b32_e32 v18, s3
	v_addc_co_u32_e32 v5, vcc, v18, v5, vcc
	global_load_dwordx2 v[18:19], v[4:5], off
	s_mov_b32 s1, 0x3fc00000
	s_mov_b32 s2, 0
	;; [unrolled: 1-line block ×3, first 2 shown]
	s_waitcnt vmcnt(8)
	v_fma_f64 v[6:7], v[30:31], s[6:7], v[6:7]
	s_mov_b32 s5, 0x3fa55555
	s_mov_b32 s6, 0
	;; [unrolled: 1-line block ×3, first 2 shown]
	s_waitcnt vmcnt(7)
	v_fma_f64 v[6:7], v[12:13], s[8:9], v[6:7]
	s_waitcnt vmcnt(6)
	v_fma_f64 v[6:7], v[32:33], s[0:1], v[6:7]
	;; [unrolled: 2-line block ×6, first 2 shown]
	v_fma_f64 v[0:1], v[2:3], s[2:3], v[0:1]
	s_waitcnt vmcnt(1)
	v_fma_f64 v[0:1], v[8:9], s[4:5], v[0:1]
	v_fma_f64 v[0:1], v[10:11], s[6:7], v[0:1]
	s_waitcnt vmcnt(0)
	v_add_f64 v[0:1], v[18:19], v[0:1]
	global_store_dwordx2 v[4:5], v[0:1], off
.LBB3_2:
	s_endpgm
	.section	.rodata,"a",@progbits
	.p2align	6, 0x0
	.amdhsa_kernel _Z5star4iPKdPd
		.amdhsa_group_segment_fixed_size 0
		.amdhsa_private_segment_fixed_size 0
		.amdhsa_kernarg_size 280
		.amdhsa_user_sgpr_count 6
		.amdhsa_user_sgpr_private_segment_buffer 1
		.amdhsa_user_sgpr_dispatch_ptr 0
		.amdhsa_user_sgpr_queue_ptr 0
		.amdhsa_user_sgpr_kernarg_segment_ptr 1
		.amdhsa_user_sgpr_dispatch_id 0
		.amdhsa_user_sgpr_flat_scratch_init 0
		.amdhsa_user_sgpr_private_segment_size 0
		.amdhsa_uses_dynamic_stack 0
		.amdhsa_system_sgpr_private_segment_wavefront_offset 0
		.amdhsa_system_sgpr_workgroup_id_x 1
		.amdhsa_system_sgpr_workgroup_id_y 1
		.amdhsa_system_sgpr_workgroup_id_z 0
		.amdhsa_system_sgpr_workgroup_info 0
		.amdhsa_system_vgpr_workitem_id 1
		.amdhsa_next_free_vgpr 36
		.amdhsa_next_free_sgpr 10
		.amdhsa_reserve_vcc 1
		.amdhsa_reserve_flat_scratch 0
		.amdhsa_float_round_mode_32 0
		.amdhsa_float_round_mode_16_64 0
		.amdhsa_float_denorm_mode_32 3
		.amdhsa_float_denorm_mode_16_64 3
		.amdhsa_dx10_clamp 1
		.amdhsa_ieee_mode 1
		.amdhsa_fp16_overflow 0
		.amdhsa_exception_fp_ieee_invalid_op 0
		.amdhsa_exception_fp_denorm_src 0
		.amdhsa_exception_fp_ieee_div_zero 0
		.amdhsa_exception_fp_ieee_overflow 0
		.amdhsa_exception_fp_ieee_underflow 0
		.amdhsa_exception_fp_ieee_inexact 0
		.amdhsa_exception_int_div_zero 0
	.end_amdhsa_kernel
	.text
.Lfunc_end3:
	.size	_Z5star4iPKdPd, .Lfunc_end3-_Z5star4iPKdPd
                                        ; -- End function
	.section	.AMDGPU.csdata,"",@progbits
; Kernel info:
; codeLenInByte = 812
; NumSgprs: 14
; NumVgprs: 36
; ScratchSize: 0
; MemoryBound: 0
; FloatMode: 240
; IeeeMode: 1
; LDSByteSize: 0 bytes/workgroup (compile time only)
; SGPRBlocks: 1
; VGPRBlocks: 8
; NumSGPRsForWavesPerEU: 14
; NumVGPRsForWavesPerEU: 36
; Occupancy: 7
; WaveLimiterHint : 0
; COMPUTE_PGM_RSRC2:SCRATCH_EN: 0
; COMPUTE_PGM_RSRC2:USER_SGPR: 6
; COMPUTE_PGM_RSRC2:TRAP_HANDLER: 0
; COMPUTE_PGM_RSRC2:TGID_X_EN: 1
; COMPUTE_PGM_RSRC2:TGID_Y_EN: 1
; COMPUTE_PGM_RSRC2:TGID_Z_EN: 0
; COMPUTE_PGM_RSRC2:TIDIG_COMP_CNT: 1
	.text
	.protected	_Z5star5iPKdPd          ; -- Begin function _Z5star5iPKdPd
	.globl	_Z5star5iPKdPd
	.p2align	8
	.type	_Z5star5iPKdPd,@function
_Z5star5iPKdPd:                         ; @_Z5star5iPKdPd
; %bb.0:
	s_load_dword s0, s[4:5], 0x24
	s_load_dword s14, s[4:5], 0x0
	s_waitcnt lgkmcnt(0)
	s_lshr_b32 s1, s0, 16
	s_and_b32 s0, s0, 0xffff
	s_mul_i32 s6, s6, s0
	s_mul_i32 s7, s7, s1
	v_add_u32_e32 v0, s6, v0
	v_add_u32_e32 v2, s7, v1
	s_add_i32 s0, s14, -5
	v_max_i32_e32 v1, v0, v2
	v_cmp_gt_i32_e32 vcc, s0, v1
	v_min_i32_e32 v1, v2, v0
	v_cmp_lt_i32_e64 s[0:1], 4, v1
	s_and_b64 s[0:1], s[0:1], vcc
	s_and_saveexec_b64 s[2:3], s[0:1]
	s_cbranch_execz .LBB4_2
; %bb.1:
	v_mul_lo_u32 v13, v0, s14
	s_load_dwordx4 s[0:3], s[4:5], 0x8
	v_ashrrev_i32_e32 v3, 31, v2
	s_mov_b32 s7, 0xbf999999
	v_ashrrev_i32_e32 v1, 31, v13
	v_add_co_u32_e32 v0, vcc, v2, v13
	v_addc_co_u32_e32 v1, vcc, v3, v1, vcc
	v_lshlrev_b64 v[0:1], 3, v[0:1]
	s_waitcnt lgkmcnt(0)
	v_mov_b32_e32 v3, s1
	v_add_co_u32_e32 v0, vcc, s0, v0
	v_addc_co_u32_e32 v1, vcc, v3, v1, vcc
	global_load_dwordx2 v[11:12], v[0:1], off offset:-8
	global_load_dwordx4 v[3:6], v[0:1], off offset:-24
	global_load_dwordx4 v[7:10], v[0:1], off offset:-40
	s_mov_b32 s6, 0x9999999a
	s_mov_b32 s5, 0xbf947ae1
	;; [unrolled: 1-line block ×9, first 2 shown]
	v_add_u32_e32 v2, v13, v2
	s_waitcnt vmcnt(0)
	v_mul_f64 v[9:10], v[9:10], s[6:7]
	v_fma_f64 v[7:8], v[7:8], s[4:5], v[9:10]
	v_fma_f64 v[3:4], v[3:4], s[8:9], v[7:8]
	v_mov_b32_e32 v8, s1
	v_fma_f64 v[3:4], v[5:6], s[12:13], v[3:4]
	v_fma_f64 v[3:4], v[11:12], s[10:11], v[3:4]
	v_mad_u64_u32 v[5:6], s[16:17], s14, -5, v[2:3]
	v_ashrrev_i32_e32 v6, 31, v5
	v_lshlrev_b64 v[6:7], 3, v[5:6]
	v_add_u32_e32 v5, s14, v5
	v_add_co_u32_e32 v6, vcc, s0, v6
	v_addc_co_u32_e32 v7, vcc, v8, v7, vcc
	global_load_dwordx2 v[6:7], v[6:7], off
	s_waitcnt vmcnt(0)
	v_fma_f64 v[3:4], v[6:7], s[4:5], v[3:4]
	v_ashrrev_i32_e32 v6, 31, v5
	v_lshlrev_b64 v[6:7], 3, v[5:6]
	v_add_u32_e32 v5, s14, v5
	v_add_co_u32_e32 v6, vcc, s0, v6
	v_addc_co_u32_e32 v7, vcc, v8, v7, vcc
	global_load_dwordx2 v[6:7], v[6:7], off
	s_mov_b32 s5, 0x3f947ae1
	s_waitcnt vmcnt(0)
	v_fma_f64 v[3:4], v[6:7], s[6:7], v[3:4]
	v_ashrrev_i32_e32 v6, 31, v5
	v_lshlrev_b64 v[6:7], 3, v[5:6]
	v_add_u32_e32 v5, s14, v5
	v_add_co_u32_e32 v6, vcc, s0, v6
	v_addc_co_u32_e32 v7, vcc, v8, v7, vcc
	global_load_dwordx2 v[6:7], v[6:7], off
	s_mov_b32 s7, 0x3fb99999
	;; [unrolled: 9-line block ×3, first 2 shown]
	s_waitcnt vmcnt(0)
	v_fma_f64 v[3:4], v[6:7], s[12:13], v[3:4]
	v_ashrrev_i32_e32 v6, 31, v5
	v_lshlrev_b64 v[6:7], 3, v[5:6]
	v_lshl_add_u32 v5, s14, 1, v5
	v_add_co_u32_e32 v6, vcc, s0, v6
	v_addc_co_u32_e32 v7, vcc, v8, v7, vcc
	global_load_dwordx2 v[6:7], v[6:7], off
	s_mov_b32 s13, 0x3f999999
	s_waitcnt vmcnt(0)
	v_fma_f64 v[3:4], v[6:7], s[10:11], v[3:4]
	v_ashrrev_i32_e32 v6, 31, v5
	v_lshlrev_b64 v[6:7], 3, v[5:6]
	v_add_u32_e32 v5, s14, v5
	v_add_co_u32_e32 v6, vcc, s0, v6
	v_addc_co_u32_e32 v7, vcc, v8, v7, vcc
	global_load_dwordx2 v[6:7], v[6:7], off
	s_mov_b32 s11, 0x3fa99999
	s_waitcnt vmcnt(0)
	v_fma_f64 v[3:4], v[6:7], s[6:7], v[3:4]
	v_ashrrev_i32_e32 v6, 31, v5
	v_lshlrev_b64 v[6:7], 3, v[5:6]
	v_add_u32_e32 v5, s14, v5
	v_add_co_u32_e32 v6, vcc, s0, v6
	v_addc_co_u32_e32 v7, vcc, v8, v7, vcc
	global_load_dwordx2 v[6:7], v[6:7], off
	s_waitcnt vmcnt(0)
	v_fma_f64 v[3:4], v[6:7], s[10:11], v[3:4]
	v_ashrrev_i32_e32 v6, 31, v5
	v_lshlrev_b64 v[6:7], 3, v[5:6]
	v_add_u32_e32 v5, s14, v5
	v_add_co_u32_e32 v6, vcc, s0, v6
	v_addc_co_u32_e32 v7, vcc, v8, v7, vcc
	global_load_dwordx2 v[6:7], v[6:7], off
	;; [unrolled: 8-line block ×3, first 2 shown]
	s_waitcnt vmcnt(0)
	v_fma_f64 v[3:4], v[6:7], s[12:13], v[3:4]
	v_ashrrev_i32_e32 v6, 31, v5
	v_lshlrev_b64 v[5:6], 3, v[5:6]
	v_mov_b32_e32 v7, s1
	v_add_co_u32_e32 v5, vcc, s0, v5
	v_addc_co_u32_e32 v6, vcc, v7, v6, vcc
	global_load_dwordx2 v[5:6], v[5:6], off
	s_waitcnt vmcnt(0)
	v_fma_f64 v[11:12], v[5:6], s[4:5], v[3:4]
	global_load_dwordx2 v[13:14], v[0:1], off offset:40
	global_load_dwordx4 v[3:6], v[0:1], off offset:24
	global_load_dwordx4 v[7:10], v[0:1], off offset:8
	s_waitcnt vmcnt(0)
	v_fma_f64 v[0:1], v[7:8], s[6:7], v[11:12]
	v_fma_f64 v[0:1], v[9:10], s[10:11], v[0:1]
	;; [unrolled: 1-line block ×3, first 2 shown]
	v_ashrrev_i32_e32 v3, 31, v2
	v_lshlrev_b64 v[2:3], 3, v[2:3]
	v_mov_b32_e32 v4, s3
	v_add_co_u32_e32 v2, vcc, s2, v2
	v_addc_co_u32_e32 v3, vcc, v4, v3, vcc
	v_fma_f64 v[0:1], v[5:6], s[12:13], v[0:1]
	global_load_dwordx2 v[4:5], v[2:3], off
	v_fma_f64 v[0:1], v[13:14], s[4:5], v[0:1]
	s_waitcnt vmcnt(0)
	v_add_f64 v[0:1], v[4:5], v[0:1]
	global_store_dwordx2 v[2:3], v[0:1], off
.LBB4_2:
	s_endpgm
	.section	.rodata,"a",@progbits
	.p2align	6, 0x0
	.amdhsa_kernel _Z5star5iPKdPd
		.amdhsa_group_segment_fixed_size 0
		.amdhsa_private_segment_fixed_size 0
		.amdhsa_kernarg_size 280
		.amdhsa_user_sgpr_count 6
		.amdhsa_user_sgpr_private_segment_buffer 1
		.amdhsa_user_sgpr_dispatch_ptr 0
		.amdhsa_user_sgpr_queue_ptr 0
		.amdhsa_user_sgpr_kernarg_segment_ptr 1
		.amdhsa_user_sgpr_dispatch_id 0
		.amdhsa_user_sgpr_flat_scratch_init 0
		.amdhsa_user_sgpr_private_segment_size 0
		.amdhsa_uses_dynamic_stack 0
		.amdhsa_system_sgpr_private_segment_wavefront_offset 0
		.amdhsa_system_sgpr_workgroup_id_x 1
		.amdhsa_system_sgpr_workgroup_id_y 1
		.amdhsa_system_sgpr_workgroup_id_z 0
		.amdhsa_system_sgpr_workgroup_info 0
		.amdhsa_system_vgpr_workitem_id 1
		.amdhsa_next_free_vgpr 15
		.amdhsa_next_free_sgpr 18
		.amdhsa_reserve_vcc 1
		.amdhsa_reserve_flat_scratch 0
		.amdhsa_float_round_mode_32 0
		.amdhsa_float_round_mode_16_64 0
		.amdhsa_float_denorm_mode_32 3
		.amdhsa_float_denorm_mode_16_64 3
		.amdhsa_dx10_clamp 1
		.amdhsa_ieee_mode 1
		.amdhsa_fp16_overflow 0
		.amdhsa_exception_fp_ieee_invalid_op 0
		.amdhsa_exception_fp_denorm_src 0
		.amdhsa_exception_fp_ieee_div_zero 0
		.amdhsa_exception_fp_ieee_overflow 0
		.amdhsa_exception_fp_ieee_underflow 0
		.amdhsa_exception_fp_ieee_inexact 0
		.amdhsa_exception_int_div_zero 0
	.end_amdhsa_kernel
	.text
.Lfunc_end4:
	.size	_Z5star5iPKdPd, .Lfunc_end4-_Z5star5iPKdPd
                                        ; -- End function
	.section	.AMDGPU.csdata,"",@progbits
; Kernel info:
; codeLenInByte = 904
; NumSgprs: 22
; NumVgprs: 15
; ScratchSize: 0
; MemoryBound: 0
; FloatMode: 240
; IeeeMode: 1
; LDSByteSize: 0 bytes/workgroup (compile time only)
; SGPRBlocks: 2
; VGPRBlocks: 3
; NumSGPRsForWavesPerEU: 22
; NumVGPRsForWavesPerEU: 15
; Occupancy: 8
; WaveLimiterHint : 0
; COMPUTE_PGM_RSRC2:SCRATCH_EN: 0
; COMPUTE_PGM_RSRC2:USER_SGPR: 6
; COMPUTE_PGM_RSRC2:TRAP_HANDLER: 0
; COMPUTE_PGM_RSRC2:TGID_X_EN: 1
; COMPUTE_PGM_RSRC2:TGID_Y_EN: 1
; COMPUTE_PGM_RSRC2:TGID_Z_EN: 0
; COMPUTE_PGM_RSRC2:TIDIG_COMP_CNT: 1
	.text
	.protected	_Z5grid1iPKdPd          ; -- Begin function _Z5grid1iPKdPd
	.globl	_Z5grid1iPKdPd
	.p2align	8
	.type	_Z5grid1iPKdPd,@function
_Z5grid1iPKdPd:                         ; @_Z5grid1iPKdPd
; %bb.0:
	s_load_dword s0, s[4:5], 0x24
	s_load_dword s8, s[4:5], 0x0
	s_waitcnt lgkmcnt(0)
	s_lshr_b32 s1, s0, 16
	s_and_b32 s0, s0, 0xffff
	s_mul_i32 s6, s6, s0
	s_mul_i32 s7, s7, s1
	v_add_u32_e32 v2, s6, v0
	v_add_u32_e32 v0, s7, v1
	s_add_i32 s0, s8, -1
	v_max_i32_e32 v1, v2, v0
	v_cmp_gt_i32_e32 vcc, s0, v1
	v_min_i32_e32 v1, v0, v2
	v_cmp_lt_i32_e64 s[0:1], 0, v1
	s_and_b64 s[0:1], s[0:1], vcc
	s_and_saveexec_b64 s[2:3], s[0:1]
	s_cbranch_execz .LBB5_2
; %bb.1:
	v_add_u32_e32 v1, -1, v2
	v_mul_lo_u32 v11, v1, s8
	v_mul_lo_u32 v13, v2, s8
	v_ashrrev_i32_e32 v4, 31, v0
	s_load_dwordx4 s[0:3], s[4:5], 0x8
	v_ashrrev_i32_e32 v2, 31, v11
	v_add_co_u32_e32 v1, vcc, v11, v0
	v_addc_co_u32_e32 v2, vcc, v2, v4, vcc
	v_ashrrev_i32_e32 v5, 31, v13
	v_add_co_u32_e32 v3, vcc, v0, v13
	v_addc_co_u32_e32 v4, vcc, v4, v5, vcc
	v_lshlrev_b64 v[3:4], 3, v[3:4]
	s_waitcnt lgkmcnt(0)
	v_mov_b32_e32 v6, s1
	v_add_co_u32_e32 v5, vcc, s0, v3
	v_addc_co_u32_e32 v6, vcc, v6, v4, vcc
	global_load_dwordx2 v[7:8], v[5:6], off offset:-8
	v_lshlrev_b64 v[1:2], 3, v[1:2]
	v_mov_b32_e32 v9, s1
	v_add_co_u32_e32 v1, vcc, s0, v1
	v_addc_co_u32_e32 v2, vcc, v9, v2, vcc
	global_load_dwordx2 v[9:10], v[1:2], off offset:-8
	v_add_u32_e32 v1, v11, v0
	v_ashrrev_i32_e32 v2, 31, v1
	v_lshlrev_b64 v[1:2], 3, v[1:2]
	v_mov_b32_e32 v3, s1
	v_add_co_u32_e32 v1, vcc, s0, v1
	v_addc_co_u32_e32 v2, vcc, v3, v2, vcc
	global_load_dwordx2 v[11:12], v[1:2], off
	v_add_u32_e32 v4, v13, v0
	v_add_u32_e32 v0, s8, v4
	v_ashrrev_i32_e32 v1, 31, v0
	v_lshlrev_b64 v[0:1], 3, v[0:1]
	v_mov_b32_e32 v2, s1
	v_add_co_u32_e32 v13, vcc, s0, v0
	v_addc_co_u32_e32 v14, vcc, v2, v1, vcc
	global_load_dwordx4 v[0:3], v[13:14], off
	global_load_dwordx2 v[15:16], v[5:6], off offset:8
	v_ashrrev_i32_e32 v5, 31, v4
	v_lshlrev_b64 v[4:5], 3, v[4:5]
	v_mov_b32_e32 v6, s3
	v_add_co_u32_e32 v4, vcc, s2, v4
	v_addc_co_u32_e32 v5, vcc, v6, v5, vcc
	global_load_dwordx2 v[13:14], v[4:5], off
	s_mov_b32 s0, 0
	s_mov_b32 s1, 0xbfd00000
	s_waitcnt vmcnt(5)
	v_ldexp_f64 v[6:7], -v[7:8], -2
	s_waitcnt vmcnt(4)
	v_fma_f64 v[6:7], v[9:10], s[0:1], v[6:7]
	s_waitcnt vmcnt(3)
	v_fma_f64 v[6:7], v[11:12], s[0:1], v[6:7]
	s_mov_b32 s0, 0
	s_mov_b32 s1, 0x3fd00000
	s_waitcnt vmcnt(2)
	v_fma_f64 v[0:1], v[0:1], s[0:1], v[6:7]
	s_waitcnt vmcnt(1)
	v_fma_f64 v[0:1], v[15:16], s[0:1], v[0:1]
	v_fma_f64 v[0:1], v[2:3], s[0:1], v[0:1]
	s_waitcnt vmcnt(0)
	v_add_f64 v[0:1], v[13:14], v[0:1]
	global_store_dwordx2 v[4:5], v[0:1], off
.LBB5_2:
	s_endpgm
	.section	.rodata,"a",@progbits
	.p2align	6, 0x0
	.amdhsa_kernel _Z5grid1iPKdPd
		.amdhsa_group_segment_fixed_size 0
		.amdhsa_private_segment_fixed_size 0
		.amdhsa_kernarg_size 280
		.amdhsa_user_sgpr_count 6
		.amdhsa_user_sgpr_private_segment_buffer 1
		.amdhsa_user_sgpr_dispatch_ptr 0
		.amdhsa_user_sgpr_queue_ptr 0
		.amdhsa_user_sgpr_kernarg_segment_ptr 1
		.amdhsa_user_sgpr_dispatch_id 0
		.amdhsa_user_sgpr_flat_scratch_init 0
		.amdhsa_user_sgpr_private_segment_size 0
		.amdhsa_uses_dynamic_stack 0
		.amdhsa_system_sgpr_private_segment_wavefront_offset 0
		.amdhsa_system_sgpr_workgroup_id_x 1
		.amdhsa_system_sgpr_workgroup_id_y 1
		.amdhsa_system_sgpr_workgroup_id_z 0
		.amdhsa_system_sgpr_workgroup_info 0
		.amdhsa_system_vgpr_workitem_id 1
		.amdhsa_next_free_vgpr 17
		.amdhsa_next_free_sgpr 9
		.amdhsa_reserve_vcc 1
		.amdhsa_reserve_flat_scratch 0
		.amdhsa_float_round_mode_32 0
		.amdhsa_float_round_mode_16_64 0
		.amdhsa_float_denorm_mode_32 3
		.amdhsa_float_denorm_mode_16_64 3
		.amdhsa_dx10_clamp 1
		.amdhsa_ieee_mode 1
		.amdhsa_fp16_overflow 0
		.amdhsa_exception_fp_ieee_invalid_op 0
		.amdhsa_exception_fp_denorm_src 0
		.amdhsa_exception_fp_ieee_div_zero 0
		.amdhsa_exception_fp_ieee_overflow 0
		.amdhsa_exception_fp_ieee_underflow 0
		.amdhsa_exception_fp_ieee_inexact 0
		.amdhsa_exception_int_div_zero 0
	.end_amdhsa_kernel
	.text
.Lfunc_end5:
	.size	_Z5grid1iPKdPd, .Lfunc_end5-_Z5grid1iPKdPd
                                        ; -- End function
	.section	.AMDGPU.csdata,"",@progbits
; Kernel info:
; codeLenInByte = 432
; NumSgprs: 13
; NumVgprs: 17
; ScratchSize: 0
; MemoryBound: 0
; FloatMode: 240
; IeeeMode: 1
; LDSByteSize: 0 bytes/workgroup (compile time only)
; SGPRBlocks: 1
; VGPRBlocks: 4
; NumSGPRsForWavesPerEU: 13
; NumVGPRsForWavesPerEU: 17
; Occupancy: 8
; WaveLimiterHint : 0
; COMPUTE_PGM_RSRC2:SCRATCH_EN: 0
; COMPUTE_PGM_RSRC2:USER_SGPR: 6
; COMPUTE_PGM_RSRC2:TRAP_HANDLER: 0
; COMPUTE_PGM_RSRC2:TGID_X_EN: 1
; COMPUTE_PGM_RSRC2:TGID_Y_EN: 1
; COMPUTE_PGM_RSRC2:TGID_Z_EN: 0
; COMPUTE_PGM_RSRC2:TIDIG_COMP_CNT: 1
	.text
	.protected	_Z5grid2iPKdPd          ; -- Begin function _Z5grid2iPKdPd
	.globl	_Z5grid2iPKdPd
	.p2align	8
	.type	_Z5grid2iPKdPd,@function
_Z5grid2iPKdPd:                         ; @_Z5grid2iPKdPd
; %bb.0:
	s_load_dword s0, s[4:5], 0x24
	s_load_dword s2, s[4:5], 0x0
	s_waitcnt lgkmcnt(0)
	s_lshr_b32 s1, s0, 16
	s_and_b32 s0, s0, 0xffff
	s_mul_i32 s6, s6, s0
	s_mul_i32 s7, s7, s1
	v_add_u32_e32 v8, s6, v0
	v_add_u32_e32 v14, s7, v1
	s_add_i32 s0, s2, -2
	v_max_i32_e32 v0, v8, v14
	v_cmp_gt_i32_e32 vcc, s0, v0
	v_min_i32_e32 v0, v14, v8
	v_cmp_lt_i32_e64 s[0:1], 1, v0
	s_and_b64 s[0:1], s[0:1], vcc
	s_and_saveexec_b64 s[6:7], s[0:1]
	s_cbranch_execz .LBB6_2
; %bb.1:
	v_add_u32_e32 v0, -2, v8
	v_mul_lo_u32 v16, v0, s2
	s_load_dwordx4 s[4:7], s[4:5], 0x8
	v_ashrrev_i32_e32 v15, 31, v14
	v_mul_lo_u32 v17, v8, s2
	v_add_u32_e32 v18, s2, v16
	v_ashrrev_i32_e32 v1, 31, v18
	v_add_co_u32_e64 v0, s[0:1], v18, v14
	v_addc_co_u32_e64 v1, s[0:1], v1, v15, s[0:1]
	v_lshlrev_b64 v[0:1], 3, v[0:1]
	v_ashrrev_i32_e32 v5, 31, v16
	v_add_co_u32_e32 v4, vcc, v16, v14
	s_waitcnt lgkmcnt(0)
	v_mov_b32_e32 v2, s5
	v_add_co_u32_e64 v0, s[0:1], s4, v0
	v_addc_co_u32_e64 v1, s[0:1], v2, v1, s[0:1]
	v_addc_co_u32_e32 v5, vcc, v5, v15, vcc
	global_load_dwordx4 v[0:3], v[0:1], off offset:-16
	v_lshlrev_b64 v[4:5], 3, v[4:5]
	v_mov_b32_e32 v6, s5
	v_add_co_u32_e32 v4, vcc, s4, v4
	v_addc_co_u32_e32 v5, vcc, v6, v5, vcc
	global_load_dwordx4 v[4:7], v[4:5], off offset:-16
	v_ashrrev_i32_e32 v9, 31, v17
	v_add_co_u32_e32 v8, vcc, v14, v17
	v_addc_co_u32_e32 v9, vcc, v15, v9, vcc
	v_lshlrev_b64 v[8:9], 3, v[8:9]
	v_mov_b32_e32 v10, s5
	v_add_co_u32_e32 v12, vcc, s4, v8
	v_add_u32_e32 v19, s2, v17
	v_addc_co_u32_e32 v13, vcc, v10, v9, vcc
	v_ashrrev_i32_e32 v11, 31, v19
	v_add_co_u32_e32 v8, vcc, v19, v14
	v_addc_co_u32_e32 v9, vcc, v11, v15, vcc
	v_lshlrev_b64 v[8:9], 3, v[8:9]
	s_mov_b32 s0, 0x55555555
	v_add_co_u32_e32 v8, vcc, s4, v8
	v_addc_co_u32_e32 v9, vcc, v10, v9, vcc
	global_load_dwordx2 v[20:21], v[8:9], off offset:-16
	s_mov_b32 s1, 0xbf955555
	global_load_dwordx4 v[8:11], v[12:13], off offset:-16
	s_mov_b32 s8, 0
	s_mov_b32 s9, 0xbfb00000
	;; [unrolled: 1-line block ×3, first 2 shown]
	s_waitcnt vmcnt(3)
	v_mul_f64 v[0:1], v[0:1], s[0:1]
	s_waitcnt vmcnt(2)
	v_fma_f64 v[0:1], v[4:5], s[8:9], v[0:1]
	s_mov_b32 s8, 0
	v_add_u32_e32 v4, v16, v14
	s_mov_b32 s9, 0xbfc00000
	v_ashrrev_i32_e32 v5, 31, v4
	s_waitcnt vmcnt(0)
	v_fma_f64 v[0:1], v[8:9], s[0:1], v[0:1]
	v_mov_b32_e32 v8, s5
	v_mov_b32_e32 v9, s5
	v_fma_f64 v[0:1], v[20:21], s[0:1], v[0:1]
	v_add_u32_e32 v20, s2, v19
	s_mov_b32 s2, s0
	v_mov_b32_e32 v21, s5
	v_fma_f64 v[0:1], v[6:7], s[0:1], v[0:1]
	v_fma_f64 v[6:7], v[2:3], s[8:9], v[0:1]
	v_lshlrev_b64 v[0:1], 3, v[4:5]
	v_mov_b32_e32 v2, s5
	v_add_co_u32_e32 v0, vcc, s4, v0
	v_addc_co_u32_e32 v1, vcc, v2, v1, vcc
	v_ashrrev_i32_e32 v3, 31, v20
	v_add_co_u32_e32 v2, vcc, v20, v14
	v_addc_co_u32_e32 v3, vcc, v3, v15, vcc
	v_lshlrev_b64 v[2:3], 3, v[2:3]
	v_fma_f64 v[6:7], v[10:11], s[8:9], v[6:7]
	v_add_co_u32_e32 v2, vcc, s4, v2
	v_addc_co_u32_e32 v3, vcc, v8, v3, vcc
	global_load_dwordx2 v[4:5], v[2:3], off offset:-8
	v_add_u32_e32 v2, v18, v14
	v_ashrrev_i32_e32 v3, 31, v2
	v_lshlrev_b64 v[2:3], 3, v[2:3]
	v_add_u32_e32 v10, v19, v14
	v_add_co_u32_e32 v15, vcc, s4, v2
	v_addc_co_u32_e32 v16, vcc, v9, v3, vcc
	global_load_dwordx4 v[0:3], v[0:1], off
	v_ashrrev_i32_e32 v11, 31, v10
	global_load_dwordx2 v[8:9], v[15:16], off
	v_mov_b32_e32 v19, s5
	s_waitcnt vmcnt(2)
	v_fma_f64 v[4:5], v[4:5], s[2:3], v[6:7]
	v_lshlrev_b64 v[6:7], 3, v[10:11]
	v_add_co_u32_e32 v18, vcc, s4, v6
	v_addc_co_u32_e32 v19, vcc, v19, v7, vcc
	s_waitcnt vmcnt(1)
	v_fma_f64 v[0:1], v[0:1], s[0:1], v[4:5]
	v_add_u32_e32 v4, v20, v14
	v_ashrrev_i32_e32 v5, 31, v4
	v_lshlrev_b64 v[4:5], 3, v[4:5]
	v_add_co_u32_e32 v20, vcc, s4, v4
	v_addc_co_u32_e32 v21, vcc, v21, v5, vcc
	global_load_dwordx4 v[4:7], v[18:19], off
	s_waitcnt vmcnt(1)
	v_fma_f64 v[0:1], v[8:9], s[8:9], v[0:1]
	global_load_dwordx4 v[8:11], v[20:21], off
	s_mov_b32 s4, 0
	s_mov_b32 s5, 0x3fc00000
	s_waitcnt vmcnt(1)
	v_fma_f64 v[0:1], v[4:5], s[4:5], v[0:1]
	s_waitcnt vmcnt(0)
	v_fma_f64 v[0:1], v[8:9], s[2:3], v[0:1]
	v_add_u32_e32 v8, v17, v14
	v_ashrrev_i32_e32 v9, 31, v8
	v_lshlrev_b64 v[8:9], 3, v[8:9]
	v_mov_b32_e32 v14, s7
	v_add_co_u32_e32 v8, vcc, s6, v8
	v_addc_co_u32_e32 v9, vcc, v14, v9, vcc
	v_fma_f64 v[4:5], v[2:3], s[0:1], v[0:1]
	global_load_dwordx4 v[0:3], v[12:13], off offset:8
	s_mov_b32 s0, 0
	s_mov_b32 s1, 0x3fb00000
	s_waitcnt vmcnt(0)
	v_fma_f64 v[0:1], v[0:1], s[4:5], v[4:5]
	v_fma_f64 v[0:1], v[6:7], s[4:5], v[0:1]
	global_load_dwordx2 v[4:5], v[15:16], off offset:16
	global_load_dwordx2 v[6:7], v[18:19], off offset:16
	global_load_dwordx2 v[12:13], v[20:21], off offset:16
	v_fma_f64 v[0:1], v[10:11], s[2:3], v[0:1]
	global_load_dwordx2 v[14:15], v[8:9], off
	s_waitcnt vmcnt(3)
	v_fma_f64 v[0:1], v[4:5], s[2:3], v[0:1]
	v_fma_f64 v[0:1], v[2:3], s[2:3], v[0:1]
	s_waitcnt vmcnt(2)
	v_fma_f64 v[0:1], v[6:7], s[2:3], v[0:1]
	s_waitcnt vmcnt(1)
	;; [unrolled: 2-line block ×3, first 2 shown]
	v_add_f64 v[0:1], v[14:15], v[0:1]
	global_store_dwordx2 v[8:9], v[0:1], off
.LBB6_2:
	s_endpgm
	.section	.rodata,"a",@progbits
	.p2align	6, 0x0
	.amdhsa_kernel _Z5grid2iPKdPd
		.amdhsa_group_segment_fixed_size 0
		.amdhsa_private_segment_fixed_size 0
		.amdhsa_kernarg_size 280
		.amdhsa_user_sgpr_count 6
		.amdhsa_user_sgpr_private_segment_buffer 1
		.amdhsa_user_sgpr_dispatch_ptr 0
		.amdhsa_user_sgpr_queue_ptr 0
		.amdhsa_user_sgpr_kernarg_segment_ptr 1
		.amdhsa_user_sgpr_dispatch_id 0
		.amdhsa_user_sgpr_flat_scratch_init 0
		.amdhsa_user_sgpr_private_segment_size 0
		.amdhsa_uses_dynamic_stack 0
		.amdhsa_system_sgpr_private_segment_wavefront_offset 0
		.amdhsa_system_sgpr_workgroup_id_x 1
		.amdhsa_system_sgpr_workgroup_id_y 1
		.amdhsa_system_sgpr_workgroup_id_z 0
		.amdhsa_system_sgpr_workgroup_info 0
		.amdhsa_system_vgpr_workitem_id 1
		.amdhsa_next_free_vgpr 22
		.amdhsa_next_free_sgpr 10
		.amdhsa_reserve_vcc 1
		.amdhsa_reserve_flat_scratch 0
		.amdhsa_float_round_mode_32 0
		.amdhsa_float_round_mode_16_64 0
		.amdhsa_float_denorm_mode_32 3
		.amdhsa_float_denorm_mode_16_64 3
		.amdhsa_dx10_clamp 1
		.amdhsa_ieee_mode 1
		.amdhsa_fp16_overflow 0
		.amdhsa_exception_fp_ieee_invalid_op 0
		.amdhsa_exception_fp_denorm_src 0
		.amdhsa_exception_fp_ieee_div_zero 0
		.amdhsa_exception_fp_ieee_overflow 0
		.amdhsa_exception_fp_ieee_underflow 0
		.amdhsa_exception_fp_ieee_inexact 0
		.amdhsa_exception_int_div_zero 0
	.end_amdhsa_kernel
	.text
.Lfunc_end6:
	.size	_Z5grid2iPKdPd, .Lfunc_end6-_Z5grid2iPKdPd
                                        ; -- End function
	.section	.AMDGPU.csdata,"",@progbits
; Kernel info:
; codeLenInByte = 864
; NumSgprs: 14
; NumVgprs: 22
; ScratchSize: 0
; MemoryBound: 0
; FloatMode: 240
; IeeeMode: 1
; LDSByteSize: 0 bytes/workgroup (compile time only)
; SGPRBlocks: 1
; VGPRBlocks: 5
; NumSGPRsForWavesPerEU: 14
; NumVGPRsForWavesPerEU: 22
; Occupancy: 8
; WaveLimiterHint : 0
; COMPUTE_PGM_RSRC2:SCRATCH_EN: 0
; COMPUTE_PGM_RSRC2:USER_SGPR: 6
; COMPUTE_PGM_RSRC2:TRAP_HANDLER: 0
; COMPUTE_PGM_RSRC2:TGID_X_EN: 1
; COMPUTE_PGM_RSRC2:TGID_Y_EN: 1
; COMPUTE_PGM_RSRC2:TGID_Z_EN: 0
; COMPUTE_PGM_RSRC2:TIDIG_COMP_CNT: 1
	.text
	.protected	_Z5grid3iPKdPd          ; -- Begin function _Z5grid3iPKdPd
	.globl	_Z5grid3iPKdPd
	.p2align	8
	.type	_Z5grid3iPKdPd,@function
_Z5grid3iPKdPd:                         ; @_Z5grid3iPKdPd
; %bb.0:
	s_load_dword s0, s[4:5], 0x24
	s_load_dword s8, s[4:5], 0x0
	s_waitcnt lgkmcnt(0)
	s_lshr_b32 s1, s0, 16
	s_and_b32 s0, s0, 0xffff
	s_mul_i32 s6, s6, s0
	s_mul_i32 s7, s7, s1
	v_add_u32_e32 v2, s6, v0
	v_add_u32_e32 v14, s7, v1
	s_add_i32 s0, s8, -3
	v_max_i32_e32 v0, v2, v14
	v_cmp_gt_i32_e32 vcc, s0, v0
	v_min_i32_e32 v0, v14, v2
	v_cmp_lt_i32_e64 s[0:1], 2, v0
	s_and_b64 s[0:1], s[0:1], vcc
	s_and_saveexec_b64 s[2:3], s[0:1]
	s_cbranch_execz .LBB7_2
; %bb.1:
	v_add_u32_e32 v0, -3, v2
	v_mul_lo_u32 v13, v0, s8
	s_load_dwordx4 s[0:3], s[4:5], 0x8
	v_ashrrev_i32_e32 v20, 31, v14
	v_mul_lo_u32 v15, v2, s8
	v_ashrrev_i32_e32 v1, 31, v13
	v_add_co_u32_e32 v0, vcc, v13, v14
	v_addc_co_u32_e32 v1, vcc, v1, v20, vcc
	v_lshlrev_b64 v[0:1], 3, v[0:1]
	s_waitcnt lgkmcnt(0)
	v_mov_b32_e32 v3, s1
	v_add_co_u32_e32 v0, vcc, s0, v0
	v_addc_co_u32_e32 v1, vcc, v3, v1, vcc
	v_add_u32_e32 v16, s8, v13
	v_ashrrev_i32_e32 v4, 31, v16
	v_add_co_u32_e32 v3, vcc, v16, v14
	v_addc_co_u32_e32 v4, vcc, v4, v20, vcc
	v_lshlrev_b64 v[3:4], 3, v[3:4]
	v_mov_b32_e32 v5, s1
	v_add_co_u32_e32 v6, vcc, s0, v3
	v_addc_co_u32_e32 v7, vcc, v5, v4, vcc
	global_load_dwordx4 v[21:24], v[6:7], off offset:-24
	global_load_dwordx4 v[25:28], v[0:1], off offset:-24
	v_add_u32_e32 v12, s8, v16
	v_ashrrev_i32_e32 v4, 31, v12
	v_add_co_u32_e32 v3, vcc, v12, v14
	v_addc_co_u32_e32 v4, vcc, v4, v20, vcc
	v_lshlrev_b64 v[3:4], 3, v[3:4]
	v_add_u32_e32 v18, s8, v15
	v_add_co_u32_e32 v8, vcc, s0, v3
	v_addc_co_u32_e32 v9, vcc, v5, v4, vcc
	global_load_dwordx4 v[29:32], v[8:9], off offset:-24
	v_ashrrev_i32_e32 v3, 31, v15
	v_add_co_u32_e32 v2, vcc, v14, v15
	v_addc_co_u32_e32 v3, vcc, v20, v3, vcc
	v_lshlrev_b64 v[2:3], 3, v[2:3]
	v_mov_b32_e32 v10, s1
	v_add_co_u32_e32 v4, vcc, s0, v2
	v_addc_co_u32_e32 v5, vcc, v5, v3, vcc
	global_load_dwordx4 v[33:36], v[4:5], off offset:-24
	v_ashrrev_i32_e32 v3, 31, v18
	v_add_co_u32_e32 v2, vcc, v18, v14
	v_addc_co_u32_e32 v3, vcc, v3, v20, vcc
	v_lshlrev_b64 v[2:3], 3, v[2:3]
	s_mov_b32 s6, 0x16c16c17
	v_add_co_u32_e32 v2, vcc, s0, v2
	v_addc_co_u32_e32 v3, vcc, v10, v3, vcc
	global_load_dwordx4 v[37:40], v[2:3], off offset:-24
	s_mov_b32 s7, 0xbf76c16c
	s_mov_b32 s5, 0xbf9c71c7
	;; [unrolled: 1-line block ×3, first 2 shown]
	v_add_u32_e32 v17, s8, v18
	v_ashrrev_i32_e32 v11, 31, v17
	v_add_co_u32_e32 v10, vcc, v17, v14
	v_addc_co_u32_e32 v11, vcc, v11, v20, vcc
	v_lshlrev_b64 v[10:11], 3, v[10:11]
	v_mov_b32_e32 v19, s1
	v_add_co_u32_e32 v10, vcc, s0, v10
	v_addc_co_u32_e32 v11, vcc, v19, v11, vcc
	s_mov_b32 s11, 0xbfa55555
	s_mov_b32 s10, 0x55555555
	v_add_u32_e32 v19, s8, v17
	s_mov_b32 s9, 0x3f76c16c
	s_mov_b32 s8, s6
	s_mov_b32 s13, 0x3f8c71c7
	s_mov_b32 s12, s4
	s_waitcnt vmcnt(4)
	v_mul_f64 v[21:22], v[21:22], s[6:7]
	s_waitcnt vmcnt(3)
	v_fma_f64 v[21:22], v[25:26], s[4:5], v[21:22]
	s_mov_b32 s5, 0xbf8c71c7
	s_waitcnt vmcnt(2)
	v_fma_f64 v[21:22], v[29:30], s[6:7], v[21:22]
	s_waitcnt vmcnt(1)
	v_fma_f64 v[21:22], v[33:34], s[6:7], v[21:22]
	;; [unrolled: 2-line block ×3, first 2 shown]
	global_load_dwordx2 v[21:22], v[10:11], off offset:-24
	s_waitcnt vmcnt(0)
	v_fma_f64 v[2:3], v[21:22], s[6:7], v[2:3]
	v_fma_f64 v[2:3], v[27:28], s[6:7], v[2:3]
	;; [unrolled: 1-line block ×3, first 2 shown]
	s_mov_b32 s11, 0xbfb55555
	v_fma_f64 v[2:3], v[31:32], s[4:5], v[2:3]
	v_fma_f64 v[2:3], v[35:36], s[4:5], v[2:3]
	v_fma_f64 v[21:22], v[39:40], s[4:5], v[2:3]
	v_ashrrev_i32_e32 v3, 31, v19
	v_add_co_u32_e32 v2, vcc, v19, v14
	v_addc_co_u32_e32 v3, vcc, v3, v20, vcc
	v_lshlrev_b64 v[2:3], 3, v[2:3]
	v_mov_b32_e32 v20, s1
	v_add_co_u32_e32 v2, vcc, s0, v2
	v_addc_co_u32_e32 v3, vcc, v20, v3, vcc
	global_load_dwordx2 v[23:24], v[0:1], off offset:-8
	s_nop 0
	global_load_dwordx4 v[0:3], v[2:3], off offset:-16
	s_waitcnt vmcnt(0)
	v_fma_f64 v[0:1], v[0:1], s[8:9], v[21:22]
	global_load_dwordx2 v[6:7], v[6:7], off offset:-8
	v_mov_b32_e32 v22, s1
	v_fma_f64 v[0:1], v[23:24], s[6:7], v[0:1]
	v_mov_b32_e32 v23, s1
	v_mov_b32_e32 v24, s1
	s_waitcnt vmcnt(0)
	v_fma_f64 v[0:1], v[6:7], s[4:5], v[0:1]
	global_load_dwordx2 v[6:7], v[8:9], off offset:-8
	s_waitcnt vmcnt(0)
	v_fma_f64 v[0:1], v[6:7], s[10:11], v[0:1]
	global_load_dwordx2 v[6:7], v[4:5], off offset:-8
	global_load_dwordx2 v[8:9], v[10:11], off offset:-8
	s_waitcnt vmcnt(1)
	v_fma_f64 v[0:1], v[6:7], s[10:11], v[0:1]
	v_add_u32_e32 v6, v13, v14
	v_ashrrev_i32_e32 v7, 31, v6
	v_mov_b32_e32 v13, s1
	s_waitcnt vmcnt(0)
	v_fma_f64 v[0:1], v[8:9], s[12:13], v[0:1]
	v_mov_b32_e32 v9, s1
	v_add_u32_e32 v8, v18, v14
	v_mov_b32_e32 v18, s1
	v_fma_f64 v[20:21], v[2:3], s[8:9], v[0:1]
	v_lshlrev_b64 v[0:1], 3, v[6:7]
	v_add_u32_e32 v6, v12, v14
	v_add_co_u32_e32 v10, vcc, s0, v0
	v_addc_co_u32_e32 v11, vcc, v9, v1, vcc
	v_ashrrev_i32_e32 v9, 31, v8
	v_lshlrev_b64 v[0:1], 3, v[8:9]
	v_ashrrev_i32_e32 v7, 31, v6
	v_add_co_u32_e32 v2, vcc, s0, v0
	v_add_u32_e32 v0, v16, v14
	v_addc_co_u32_e32 v3, vcc, v18, v1, vcc
	v_ashrrev_i32_e32 v1, 31, v0
	v_lshlrev_b64 v[0:1], 3, v[0:1]
	v_lshlrev_b64 v[6:7], 3, v[6:7]
	v_add_co_u32_e32 v8, vcc, s0, v0
	v_add_u32_e32 v0, v17, v14
	v_addc_co_u32_e32 v9, vcc, v13, v1, vcc
	v_ashrrev_i32_e32 v1, 31, v0
	v_lshlrev_b64 v[0:1], 3, v[0:1]
	v_add_co_u32_e32 v0, vcc, s0, v0
	v_addc_co_u32_e32 v1, vcc, v22, v1, vcc
	v_add_co_u32_e32 v12, vcc, s0, v6
	v_add_u32_e32 v6, v19, v14
	global_load_dwordx4 v[16:19], v[10:11], off
	v_addc_co_u32_e32 v13, vcc, v23, v7, vcc
	v_ashrrev_i32_e32 v7, 31, v6
	v_lshlrev_b64 v[6:7], 3, v[6:7]
	global_load_dwordx4 v[28:31], v[0:1], off
	v_add_co_u32_e32 v6, vcc, s0, v6
	v_addc_co_u32_e32 v7, vcc, v24, v7, vcc
	global_load_dwordx4 v[32:35], v[6:7], off
	global_load_dwordx4 v[24:27], v[2:3], off
	s_waitcnt vmcnt(3)
	v_fma_f64 v[16:17], v[16:17], s[6:7], v[20:21]
	global_load_dwordx4 v[20:23], v[8:9], off
	s_waitcnt vmcnt(0)
	v_fma_f64 v[16:17], v[20:21], s[4:5], v[16:17]
	global_load_dwordx2 v[20:21], v[12:13], off
	s_waitcnt vmcnt(0)
	v_fma_f64 v[16:17], v[20:21], s[10:11], v[16:17]
	s_mov_b32 s11, 0x3fb55555
	global_load_dwordx2 v[10:11], v[10:11], off offset:16
	v_fma_f64 v[16:17], v[24:25], s[10:11], v[16:17]
	v_fma_f64 v[16:17], v[28:29], s[12:13], v[16:17]
	;; [unrolled: 1-line block ×5, first 2 shown]
	global_load_dwordx4 v[16:19], v[4:5], off offset:8
	s_mov_b32 s5, 0x3f9c71c7
	s_waitcnt vmcnt(0)
	v_fma_f64 v[16:17], v[16:17], s[10:11], v[20:21]
	v_fma_f64 v[16:17], v[26:27], s[10:11], v[16:17]
	s_mov_b32 s11, 0x3fa55555
	v_fma_f64 v[16:17], v[30:31], s[12:13], v[16:17]
	v_fma_f64 v[16:17], v[34:35], s[8:9], v[16:17]
	v_fma_f64 v[16:17], v[10:11], s[6:7], v[16:17]
	global_load_dwordx4 v[10:13], v[12:13], off offset:16
	s_waitcnt vmcnt(0)
	v_fma_f64 v[10:11], v[10:11], s[12:13], v[16:17]
	v_fma_f64 v[10:11], v[18:19], s[12:13], v[10:11]
	global_load_dwordx4 v[16:19], v[2:3], off offset:16
	global_load_dwordx2 v[20:21], v[8:9], off offset:24
	s_waitcnt vmcnt(1)
	v_fma_f64 v[8:9], v[16:17], s[12:13], v[10:11]
	global_load_dwordx4 v[0:3], v[0:1], off offset:16
	v_mov_b32_e32 v10, s3
	global_load_dwordx2 v[4:5], v[4:5], off offset:24
	s_waitcnt vmcnt(1)
	v_fma_f64 v[0:1], v[0:1], s[10:11], v[8:9]
	global_load_dwordx4 v[6:9], v[6:7], off offset:16
	s_waitcnt vmcnt(0)
	v_fma_f64 v[0:1], v[6:7], s[8:9], v[0:1]
	v_add_u32_e32 v6, v15, v14
	v_ashrrev_i32_e32 v7, 31, v6
	v_lshlrev_b64 v[6:7], 3, v[6:7]
	v_add_co_u32_e32 v6, vcc, s2, v6
	v_addc_co_u32_e32 v7, vcc, v10, v7, vcc
	global_load_dwordx2 v[10:11], v[6:7], off
	v_fma_f64 v[0:1], v[20:21], s[8:9], v[0:1]
	v_fma_f64 v[0:1], v[12:13], s[8:9], v[0:1]
	;; [unrolled: 1-line block ×6, first 2 shown]
	s_waitcnt vmcnt(0)
	v_add_f64 v[0:1], v[10:11], v[0:1]
	global_store_dwordx2 v[6:7], v[0:1], off
.LBB7_2:
	s_endpgm
	.section	.rodata,"a",@progbits
	.p2align	6, 0x0
	.amdhsa_kernel _Z5grid3iPKdPd
		.amdhsa_group_segment_fixed_size 0
		.amdhsa_private_segment_fixed_size 0
		.amdhsa_kernarg_size 280
		.amdhsa_user_sgpr_count 6
		.amdhsa_user_sgpr_private_segment_buffer 1
		.amdhsa_user_sgpr_dispatch_ptr 0
		.amdhsa_user_sgpr_queue_ptr 0
		.amdhsa_user_sgpr_kernarg_segment_ptr 1
		.amdhsa_user_sgpr_dispatch_id 0
		.amdhsa_user_sgpr_flat_scratch_init 0
		.amdhsa_user_sgpr_private_segment_size 0
		.amdhsa_uses_dynamic_stack 0
		.amdhsa_system_sgpr_private_segment_wavefront_offset 0
		.amdhsa_system_sgpr_workgroup_id_x 1
		.amdhsa_system_sgpr_workgroup_id_y 1
		.amdhsa_system_sgpr_workgroup_id_z 0
		.amdhsa_system_sgpr_workgroup_info 0
		.amdhsa_system_vgpr_workitem_id 1
		.amdhsa_next_free_vgpr 41
		.amdhsa_next_free_sgpr 14
		.amdhsa_reserve_vcc 1
		.amdhsa_reserve_flat_scratch 0
		.amdhsa_float_round_mode_32 0
		.amdhsa_float_round_mode_16_64 0
		.amdhsa_float_denorm_mode_32 3
		.amdhsa_float_denorm_mode_16_64 3
		.amdhsa_dx10_clamp 1
		.amdhsa_ieee_mode 1
		.amdhsa_fp16_overflow 0
		.amdhsa_exception_fp_ieee_invalid_op 0
		.amdhsa_exception_fp_denorm_src 0
		.amdhsa_exception_fp_ieee_div_zero 0
		.amdhsa_exception_fp_ieee_overflow 0
		.amdhsa_exception_fp_ieee_underflow 0
		.amdhsa_exception_fp_ieee_inexact 0
		.amdhsa_exception_int_div_zero 0
	.end_amdhsa_kernel
	.text
.Lfunc_end7:
	.size	_Z5grid3iPKdPd, .Lfunc_end7-_Z5grid3iPKdPd
                                        ; -- End function
	.section	.AMDGPU.csdata,"",@progbits
; Kernel info:
; codeLenInByte = 1320
; NumSgprs: 18
; NumVgprs: 41
; ScratchSize: 0
; MemoryBound: 0
; FloatMode: 240
; IeeeMode: 1
; LDSByteSize: 0 bytes/workgroup (compile time only)
; SGPRBlocks: 2
; VGPRBlocks: 10
; NumSGPRsForWavesPerEU: 18
; NumVGPRsForWavesPerEU: 41
; Occupancy: 5
; WaveLimiterHint : 0
; COMPUTE_PGM_RSRC2:SCRATCH_EN: 0
; COMPUTE_PGM_RSRC2:USER_SGPR: 6
; COMPUTE_PGM_RSRC2:TRAP_HANDLER: 0
; COMPUTE_PGM_RSRC2:TGID_X_EN: 1
; COMPUTE_PGM_RSRC2:TGID_Y_EN: 1
; COMPUTE_PGM_RSRC2:TGID_Z_EN: 0
; COMPUTE_PGM_RSRC2:TIDIG_COMP_CNT: 1
	.text
	.protected	_Z5grid4iPKdPd          ; -- Begin function _Z5grid4iPKdPd
	.globl	_Z5grid4iPKdPd
	.p2align	8
	.type	_Z5grid4iPKdPd,@function
_Z5grid4iPKdPd:                         ; @_Z5grid4iPKdPd
; %bb.0:
	s_load_dword s0, s[4:5], 0x24
	s_load_dword s12, s[4:5], 0x0
	s_waitcnt lgkmcnt(0)
	s_lshr_b32 s1, s0, 16
	s_and_b32 s0, s0, 0xffff
	s_mul_i32 s6, s6, s0
	s_mul_i32 s7, s7, s1
	v_add_u32_e32 v2, s6, v0
	v_add_u32_e32 v24, s7, v1
	s_add_i32 s0, s12, -4
	v_max_i32_e32 v0, v2, v24
	v_cmp_gt_i32_e32 vcc, s0, v0
	v_min_i32_e32 v0, v24, v2
	v_cmp_lt_i32_e64 s[0:1], 3, v0
	s_and_b64 s[0:1], s[0:1], vcc
	s_and_saveexec_b64 s[2:3], s[0:1]
	s_cbranch_execz .LBB8_2
; %bb.1:
	v_add_u32_e32 v0, -4, v2
	v_mul_lo_u32 v27, v0, s12
	s_load_dwordx4 s[0:3], s[4:5], 0x8
	v_ashrrev_i32_e32 v4, 31, v24
	v_mul_lo_u32 v25, v2, s12
	v_ashrrev_i32_e32 v1, 31, v27
	v_add_co_u32_e32 v0, vcc, v27, v24
	v_addc_co_u32_e32 v1, vcc, v1, v4, vcc
	v_lshlrev_b64 v[0:1], 3, v[0:1]
	s_waitcnt lgkmcnt(0)
	v_mov_b32_e32 v3, s1
	v_add_co_u32_e32 v6, vcc, s0, v0
	v_addc_co_u32_e32 v7, vcc, v3, v1, vcc
	v_add_u32_e32 v29, s12, v27
	v_ashrrev_i32_e32 v1, 31, v29
	v_add_co_u32_e32 v0, vcc, v29, v24
	v_addc_co_u32_e32 v1, vcc, v1, v4, vcc
	v_lshlrev_b64 v[0:1], 3, v[0:1]
	global_load_dwordx4 v[34:37], v[6:7], off offset:-32
	v_add_co_u32_e32 v0, vcc, s0, v0
	v_addc_co_u32_e32 v1, vcc, v3, v1, vcc
	global_load_dwordx4 v[20:23], v[0:1], off offset:-32
	v_add_u32_e32 v30, s12, v29
	v_ashrrev_i32_e32 v3, 31, v30
	v_add_co_u32_e32 v8, vcc, v30, v24
	v_addc_co_u32_e32 v9, vcc, v3, v4, vcc
	v_lshlrev_b64 v[8:9], 3, v[8:9]
	v_mov_b32_e32 v3, s1
	v_add_co_u32_e32 v14, vcc, s0, v8
	v_addc_co_u32_e32 v15, vcc, v3, v9, vcc
	global_load_dwordx4 v[38:41], v[14:15], off offset:-32
	v_add_u32_e32 v28, s12, v30
	v_ashrrev_i32_e32 v3, 31, v28
	v_add_co_u32_e32 v8, vcc, v28, v24
	v_addc_co_u32_e32 v9, vcc, v3, v4, vcc
	v_lshlrev_b64 v[8:9], 3, v[8:9]
	v_mov_b32_e32 v3, s1
	v_add_co_u32_e32 v16, vcc, s0, v8
	v_addc_co_u32_e32 v17, vcc, v3, v9, vcc
	global_load_dwordx4 v[42:45], v[16:17], off offset:-32
	v_ashrrev_i32_e32 v3, 31, v25
	v_add_co_u32_e32 v2, vcc, v24, v25
	v_addc_co_u32_e32 v3, vcc, v4, v3, vcc
	v_lshlrev_b64 v[2:3], 3, v[2:3]
	v_mov_b32_e32 v5, s1
	v_add_co_u32_e32 v10, vcc, s0, v2
	v_addc_co_u32_e32 v11, vcc, v5, v3, vcc
	global_load_dwordx4 v[46:49], v[10:11], off offset:-32
	v_add_u32_e32 v33, s12, v25
	v_ashrrev_i32_e32 v3, 31, v33
	v_add_co_u32_e32 v2, vcc, v33, v24
	v_addc_co_u32_e32 v3, vcc, v3, v4, vcc
	v_lshlrev_b64 v[2:3], 3, v[2:3]
	v_add_u32_e32 v32, s12, v33
	v_add_co_u32_e32 v2, vcc, s0, v2
	v_addc_co_u32_e32 v3, vcc, v5, v3, vcc
	global_load_dwordx4 v[50:53], v[2:3], off offset:-32
	v_ashrrev_i32_e32 v5, 31, v32
	v_add_co_u32_e32 v8, vcc, v32, v24
	v_addc_co_u32_e32 v9, vcc, v5, v4, vcc
	v_lshlrev_b64 v[8:9], 3, v[8:9]
	v_mov_b32_e32 v5, s1
	v_add_co_u32_e32 v12, vcc, s0, v8
	v_addc_co_u32_e32 v13, vcc, v5, v9, vcc
	global_load_dwordx4 v[54:57], v[12:13], off offset:-32
	v_add_u32_e32 v31, s12, v32
	v_ashrrev_i32_e32 v5, 31, v31
	v_add_co_u32_e32 v8, vcc, v31, v24
	v_addc_co_u32_e32 v9, vcc, v5, v4, vcc
	v_lshlrev_b64 v[8:9], 3, v[8:9]
	v_mov_b32_e32 v5, s1
	v_add_co_u32_e32 v18, vcc, s0, v8
	s_mov_b32 s4, 0x92492492
	v_addc_co_u32_e32 v19, vcc, v5, v9, vcc
	s_mov_b32 s5, 0xbf624924
	s_mov_b32 s6, 0
	;; [unrolled: 1-line block ×3, first 2 shown]
	s_waitcnt vmcnt(5)
	v_mul_f64 v[8:9], v[20:21], s[4:5]
	global_load_dwordx2 v[20:21], v[18:19], off offset:-32
	v_add_u32_e32 v26, s12, v31
	v_ashrrev_i32_e32 v5, 31, v26
	s_mov_b32 s9, 0xbf955555
	s_mov_b32 s8, 0x55555555
	s_mov_b32 s10, 0x11111111
	s_mov_b32 s11, 0xbf711111
	v_fma_f64 v[8:9], v[34:35], s[6:7], v[8:9]
	s_mov_b32 s7, 0x3f624924
	s_mov_b32 s6, s4
	;; [unrolled: 1-line block ×4, first 2 shown]
	global_load_dwordx2 v[12:13], v[12:13], off offset:-8
	s_mov_b32 s14, 0
	s_mov_b32 s15, 0xbfb00000
	s_waitcnt vmcnt(6)
	v_fma_f64 v[8:9], v[38:39], s[4:5], v[8:9]
	s_mov_b32 s17, 0x3f855555
	s_mov_b32 s16, s8
	s_waitcnt vmcnt(5)
	v_fma_f64 v[8:9], v[42:43], s[4:5], v[8:9]
	s_waitcnt vmcnt(4)
	v_fma_f64 v[8:9], v[46:47], s[4:5], v[8:9]
	;; [unrolled: 2-line block ×5, first 2 shown]
	v_add_co_u32_e32 v20, vcc, v26, v24
	v_addc_co_u32_e32 v21, vcc, v5, v4, vcc
	v_lshlrev_b64 v[4:5], 3, v[20:21]
	v_mov_b32_e32 v20, s1
	v_fma_f64 v[8:9], v[36:37], s[4:5], v[8:9]
	global_load_dwordx4 v[34:37], v[0:1], off offset:-16
	v_fma_f64 v[8:9], v[22:23], s[8:9], v[8:9]
	v_add_co_u32_e32 v22, vcc, s0, v4
	v_addc_co_u32_e32 v23, vcc, v20, v5, vcc
	global_load_dwordx2 v[20:21], v[2:3], off offset:-16
	s_mov_b32 s9, 0xbf855555
	global_load_dwordx4 v[2:5], v[22:23], off offset:-24
	v_fma_f64 v[8:9], v[40:41], s[10:11], v[8:9]
	global_load_dwordx4 v[38:41], v[14:15], off offset:-16
	v_fma_f64 v[8:9], v[44:45], s[10:11], v[8:9]
	;; [unrolled: 2-line block ×4, first 2 shown]
	v_fma_f64 v[8:9], v[56:57], s[10:11], v[8:9]
	s_waitcnt vmcnt(3)
	v_fma_f64 v[2:3], v[2:3], s[6:7], v[8:9]
	global_load_dwordx4 v[6:9], v[6:7], off offset:-16
	s_waitcnt vmcnt(0)
	v_fma_f64 v[2:3], v[6:7], s[4:5], v[2:3]
	v_fma_f64 v[0:1], v[34:35], s[10:11], v[2:3]
	;; [unrolled: 1-line block ×3, first 2 shown]
	s_mov_b32 s13, 0x3f711111
	s_mov_b32 s12, s10
	v_fma_f64 v[0:1], v[14:15], s[8:9], v[0:1]
	v_mov_b32_e32 v14, s1
	v_mov_b32_e32 v15, s1
	v_fma_f64 v[0:1], v[42:43], s[8:9], v[0:1]
	v_fma_f64 v[6:7], v[20:21], s[8:9], v[0:1]
	global_load_dwordx4 v[0:3], v[18:19], off offset:-16
	v_mov_b32_e32 v18, s1
	v_mov_b32_e32 v20, s1
	s_waitcnt vmcnt(0)
	v_fma_f64 v[0:1], v[0:1], s[12:13], v[6:7]
	v_mov_b32_e32 v7, s1
	v_fma_f64 v[0:1], v[4:5], s[6:7], v[0:1]
	v_add_u32_e32 v4, v27, v24
	v_ashrrev_i32_e32 v5, 31, v4
	v_lshlrev_b64 v[4:5], 3, v[4:5]
	v_mov_b32_e32 v27, s1
	v_add_co_u32_e32 v6, vcc, s0, v4
	v_addc_co_u32_e32 v7, vcc, v7, v5, vcc
	v_fma_f64 v[0:1], v[8:9], s[4:5], v[0:1]
	v_add_u32_e32 v8, v33, v24
	v_ashrrev_i32_e32 v9, 31, v8
	v_lshlrev_b64 v[4:5], 3, v[8:9]
	v_add_co_u32_e32 v8, vcc, s0, v4
	v_addc_co_u32_e32 v9, vcc, v14, v5, vcc
	v_fma_f64 v[0:1], v[36:37], s[10:11], v[0:1]
	global_load_dwordx4 v[34:37], v[8:9], off
	v_add_u32_e32 v4, v29, v24
	v_ashrrev_i32_e32 v5, 31, v4
	v_lshlrev_b64 v[4:5], 3, v[4:5]
	v_add_co_u32_e32 v14, vcc, s0, v4
	v_fma_f64 v[0:1], v[40:41], s[8:9], v[0:1]
	v_add_u32_e32 v4, v32, v24
	v_addc_co_u32_e32 v15, vcc, v15, v5, vcc
	v_ashrrev_i32_e32 v5, 31, v4
	v_lshlrev_b64 v[4:5], 3, v[4:5]
	v_fma_f64 v[0:1], v[16:17], s[14:15], v[0:1]
	v_mov_b32_e32 v17, s1
	v_add_co_u32_e32 v16, vcc, s0, v4
	v_add_u32_e32 v4, v30, v24
	v_addc_co_u32_e32 v17, vcc, v17, v5, vcc
	v_ashrrev_i32_e32 v5, 31, v4
	v_fma_f64 v[0:1], v[44:45], s[14:15], v[0:1]
	v_lshlrev_b64 v[4:5], 3, v[4:5]
	global_load_dwordx4 v[38:41], v[16:17], off
	v_add_co_u32_e32 v4, vcc, s0, v4
	v_addc_co_u32_e32 v5, vcc, v18, v5, vcc
	v_add_u32_e32 v18, v31, v24
	v_fma_f64 v[0:1], v[12:13], s[16:17], v[0:1]
	global_load_dwordx2 v[12:13], v[22:23], off offset:-8
	v_ashrrev_i32_e32 v19, 31, v18
	v_lshlrev_b64 v[18:19], 3, v[18:19]
	global_load_dwordx4 v[30:33], v[4:5], off
	v_add_co_u32_e32 v18, vcc, s0, v18
	v_addc_co_u32_e32 v19, vcc, v20, v19, vcc
	global_load_dwordx4 v[42:45], v[18:19], off
	v_fma_f64 v[22:23], v[2:3], s[12:13], v[0:1]
	global_load_dwordx4 v[0:3], v[6:7], off
	v_add_u32_e32 v20, v28, v24
	v_ashrrev_i32_e32 v21, 31, v20
	v_lshlrev_b64 v[20:21], 3, v[20:21]
	v_add_co_u32_e32 v20, vcc, s0, v20
	v_addc_co_u32_e32 v21, vcc, v27, v21, vcc
	s_waitcnt vmcnt(3)
	v_fma_f64 v[22:23], v[12:13], s[6:7], v[22:23]
	v_add_u32_e32 v12, v26, v24
	v_ashrrev_i32_e32 v13, 31, v12
	v_lshlrev_b64 v[12:13], 3, v[12:13]
	v_add_co_u32_e32 v12, vcc, s0, v12
	v_addc_co_u32_e32 v13, vcc, v27, v13, vcc
	global_load_dwordx4 v[26:29], v[14:15], off
	global_load_dwordx4 v[46:49], v[12:13], off
	s_waitcnt vmcnt(2)
	v_fma_f64 v[0:1], v[0:1], s[4:5], v[22:23]
	global_load_dwordx2 v[22:23], v[20:21], off
	s_mov_b32 s0, 0
	s_mov_b32 s1, 0x3fb00000
	s_waitcnt vmcnt(2)
	v_fma_f64 v[0:1], v[26:27], s[10:11], v[0:1]
	v_fma_f64 v[0:1], v[30:31], s[8:9], v[0:1]
	s_waitcnt vmcnt(0)
	v_fma_f64 v[0:1], v[22:23], s[14:15], v[0:1]
	v_fma_f64 v[0:1], v[34:35], s[0:1], v[0:1]
	;; [unrolled: 1-line block ×7, first 2 shown]
	global_load_dwordx4 v[26:29], v[6:7], off offset:16
	v_fma_f64 v[22:23], v[32:33], s[8:9], v[0:1]
	global_load_dwordx4 v[0:3], v[10:11], off offset:8
	global_load_dwordx4 v[30:33], v[20:21], off offset:16
	s_mov_b32 s9, 0x3f955555
	s_waitcnt vmcnt(1)
	v_fma_f64 v[0:1], v[0:1], s[0:1], v[22:23]
	v_fma_f64 v[0:1], v[36:37], s[0:1], v[0:1]
	global_load_dwordx4 v[34:37], v[8:9], off offset:16
	global_load_dwordx2 v[6:7], v[14:15], off offset:16
	s_mov_b32 s0, 0
	s_mov_b32 s1, 0x3fa00000
	v_fma_f64 v[0:1], v[40:41], s[16:17], v[0:1]
	global_load_dwordx4 v[38:41], v[16:17], off offset:16
	v_fma_f64 v[0:1], v[44:45], s[12:13], v[0:1]
	global_load_dwordx4 v[42:45], v[18:19], off offset:16
	;; [unrolled: 2-line block ×3, first 2 shown]
	v_fma_f64 v[0:1], v[26:27], s[4:5], v[0:1]
	s_waitcnt vmcnt(3)
	v_fma_f64 v[0:1], v[6:7], s[10:11], v[0:1]
	v_fma_f64 v[0:1], v[30:31], s[16:17], v[0:1]
	;; [unrolled: 1-line block ×4, first 2 shown]
	s_waitcnt vmcnt(2)
	v_fma_f64 v[0:1], v[38:39], s[0:1], v[0:1]
	s_mov_b32 s0, 0
	s_mov_b32 s1, 0x3f900000
	s_waitcnt vmcnt(1)
	v_fma_f64 v[0:1], v[42:43], s[12:13], v[0:1]
	s_waitcnt vmcnt(0)
	v_fma_f64 v[0:1], v[46:47], s[6:7], v[0:1]
	v_fma_f64 v[6:7], v[28:29], s[4:5], v[0:1]
	global_load_dwordx4 v[0:3], v[4:5], off offset:24
	s_waitcnt vmcnt(0)
	v_fma_f64 v[0:1], v[0:1], s[12:13], v[6:7]
	global_load_dwordx4 v[4:7], v[10:11], off offset:24
	v_mov_b32_e32 v10, s3
	v_fma_f64 v[0:1], v[32:33], s[12:13], v[0:1]
	s_waitcnt vmcnt(0)
	v_fma_f64 v[0:1], v[4:5], s[12:13], v[0:1]
	v_fma_f64 v[0:1], v[36:37], s[12:13], v[0:1]
	;; [unrolled: 1-line block ×4, first 2 shown]
	v_add_u32_e32 v0, v25, v24
	v_ashrrev_i32_e32 v1, 31, v0
	v_lshlrev_b64 v[0:1], 3, v[0:1]
	v_add_co_u32_e32 v0, vcc, s2, v0
	v_addc_co_u32_e32 v1, vcc, v10, v1, vcc
	global_load_dwordx2 v[10:11], v[14:15], off offset:32
	global_load_dwordx2 v[22:23], v[20:21], off offset:32
	;; [unrolled: 1-line block ×5, first 2 shown]
                                        ; kill: killed $vgpr8 killed $vgpr9
                                        ; kill: killed $vgpr14 killed $vgpr15
                                        ; kill: killed $vgpr18 killed $vgpr19
                                        ; kill: killed $vgpr16 killed $vgpr17
                                        ; kill: killed $vgpr20 killed $vgpr21
	s_nop 0
	global_load_dwordx2 v[8:9], v[12:13], off offset:32
	v_fma_f64 v[4:5], v[48:49], s[6:7], v[4:5]
	global_load_dwordx2 v[12:13], v[0:1], off
	s_waitcnt vmcnt(6)
	v_fma_f64 v[4:5], v[10:11], s[6:7], v[4:5]
	v_fma_f64 v[2:3], v[2:3], s[6:7], v[4:5]
	s_waitcnt vmcnt(5)
	v_fma_f64 v[2:3], v[22:23], s[6:7], v[2:3]
	v_fma_f64 v[2:3], v[6:7], s[6:7], v[2:3]
	s_waitcnt vmcnt(4)
	v_fma_f64 v[2:3], v[24:25], s[6:7], v[2:3]
	s_waitcnt vmcnt(3)
	;; [unrolled: 2-line block ×5, first 2 shown]
	v_add_f64 v[2:3], v[12:13], v[2:3]
	global_store_dwordx2 v[0:1], v[2:3], off
.LBB8_2:
	s_endpgm
	.section	.rodata,"a",@progbits
	.p2align	6, 0x0
	.amdhsa_kernel _Z5grid4iPKdPd
		.amdhsa_group_segment_fixed_size 0
		.amdhsa_private_segment_fixed_size 0
		.amdhsa_kernarg_size 280
		.amdhsa_user_sgpr_count 6
		.amdhsa_user_sgpr_private_segment_buffer 1
		.amdhsa_user_sgpr_dispatch_ptr 0
		.amdhsa_user_sgpr_queue_ptr 0
		.amdhsa_user_sgpr_kernarg_segment_ptr 1
		.amdhsa_user_sgpr_dispatch_id 0
		.amdhsa_user_sgpr_flat_scratch_init 0
		.amdhsa_user_sgpr_private_segment_size 0
		.amdhsa_uses_dynamic_stack 0
		.amdhsa_system_sgpr_private_segment_wavefront_offset 0
		.amdhsa_system_sgpr_workgroup_id_x 1
		.amdhsa_system_sgpr_workgroup_id_y 1
		.amdhsa_system_sgpr_workgroup_id_z 0
		.amdhsa_system_sgpr_workgroup_info 0
		.amdhsa_system_vgpr_workitem_id 1
		.amdhsa_next_free_vgpr 58
		.amdhsa_next_free_sgpr 18
		.amdhsa_reserve_vcc 1
		.amdhsa_reserve_flat_scratch 0
		.amdhsa_float_round_mode_32 0
		.amdhsa_float_round_mode_16_64 0
		.amdhsa_float_denorm_mode_32 3
		.amdhsa_float_denorm_mode_16_64 3
		.amdhsa_dx10_clamp 1
		.amdhsa_ieee_mode 1
		.amdhsa_fp16_overflow 0
		.amdhsa_exception_fp_ieee_invalid_op 0
		.amdhsa_exception_fp_denorm_src 0
		.amdhsa_exception_fp_ieee_div_zero 0
		.amdhsa_exception_fp_ieee_overflow 0
		.amdhsa_exception_fp_ieee_underflow 0
		.amdhsa_exception_fp_ieee_inexact 0
		.amdhsa_exception_int_div_zero 0
	.end_amdhsa_kernel
	.text
.Lfunc_end8:
	.size	_Z5grid4iPKdPd, .Lfunc_end8-_Z5grid4iPKdPd
                                        ; -- End function
	.section	.AMDGPU.csdata,"",@progbits
; Kernel info:
; codeLenInByte = 1904
; NumSgprs: 22
; NumVgprs: 58
; ScratchSize: 0
; MemoryBound: 0
; FloatMode: 240
; IeeeMode: 1
; LDSByteSize: 0 bytes/workgroup (compile time only)
; SGPRBlocks: 2
; VGPRBlocks: 14
; NumSGPRsForWavesPerEU: 22
; NumVGPRsForWavesPerEU: 58
; Occupancy: 4
; WaveLimiterHint : 0
; COMPUTE_PGM_RSRC2:SCRATCH_EN: 0
; COMPUTE_PGM_RSRC2:USER_SGPR: 6
; COMPUTE_PGM_RSRC2:TRAP_HANDLER: 0
; COMPUTE_PGM_RSRC2:TGID_X_EN: 1
; COMPUTE_PGM_RSRC2:TGID_Y_EN: 1
; COMPUTE_PGM_RSRC2:TGID_Z_EN: 0
; COMPUTE_PGM_RSRC2:TIDIG_COMP_CNT: 1
	.text
	.protected	_Z5grid5iPKdPd          ; -- Begin function _Z5grid5iPKdPd
	.globl	_Z5grid5iPKdPd
	.p2align	8
	.type	_Z5grid5iPKdPd,@function
_Z5grid5iPKdPd:                         ; @_Z5grid5iPKdPd
; %bb.0:
	s_mov_b64 s[26:27], s[2:3]
	s_mov_b64 s[24:25], s[0:1]
	s_load_dword s0, s[4:5], 0x24
	s_load_dword s14, s[4:5], 0x0
	s_add_u32 s24, s24, s8
	s_addc_u32 s25, s25, 0
	s_waitcnt lgkmcnt(0)
	s_lshr_b32 s1, s0, 16
	s_and_b32 s0, s0, 0xffff
	s_mul_i32 s6, s6, s0
	s_mul_i32 s7, s7, s1
	v_add_u32_e32 v0, s6, v0
	v_add_u32_e32 v30, s7, v1
	s_add_i32 s0, s14, -5
	v_max_i32_e32 v1, v0, v30
	v_cmp_gt_i32_e32 vcc, s0, v1
	v_min_i32_e32 v1, v30, v0
	v_cmp_lt_i32_e64 s[0:1], 4, v1
	s_and_b64 s[0:1], s[0:1], vcc
	s_and_saveexec_b64 s[2:3], s[0:1]
	s_cbranch_execz .LBB9_2
; %bb.1:
	v_add_u32_e32 v1, -5, v0
	v_mul_lo_u32 v3, v1, s14
	s_load_dwordx4 s[0:3], s[4:5], 0x8
	v_ashrrev_i32_e32 v18, 31, v30
	s_mov_b32 s8, 0x789abcdf
	v_ashrrev_i32_e32 v2, 31, v3
	v_add_co_u32_e32 v1, vcc, v3, v30
	v_addc_co_u32_e32 v2, vcc, v2, v18, vcc
	v_lshlrev_b64 v[1:2], 3, v[1:2]
	v_mov_b32_e32 v4, v3
	s_waitcnt lgkmcnt(0)
	v_mov_b32_e32 v3, s1
	v_add_co_u32_e32 v31, vcc, s0, v1
	v_addc_co_u32_e32 v32, vcc, v3, v2, vcc
	v_add_u32_e32 v3, s14, v4
	v_ashrrev_i32_e32 v2, 31, v3
	v_add_co_u32_e32 v1, vcc, v3, v30
	v_addc_co_u32_e32 v2, vcc, v2, v18, vcc
	v_lshlrev_b64 v[1:2], 3, v[1:2]
	buffer_store_dword v4, off, s[24:27], 0 offset:4 ; 4-byte Folded Spill
	v_mov_b32_e32 v4, v3
	v_mov_b32_e32 v3, s1
	v_add_co_u32_e32 v61, vcc, s0, v1
	v_addc_co_u32_e32 v62, vcc, v3, v2, vcc
	global_load_dwordx4 v[33:36], v[61:62], off offset:-40
	global_load_dwordx4 v[37:40], v[31:32], off offset:-40
	v_add_u32_e32 v3, s14, v4
	v_ashrrev_i32_e32 v2, 31, v3
	v_add_co_u32_e32 v1, vcc, v3, v30
	v_addc_co_u32_e32 v2, vcc, v2, v18, vcc
	v_lshlrev_b64 v[1:2], 3, v[1:2]
	buffer_store_dword v4, off, s[24:27], 0 offset:12 ; 4-byte Folded Spill
	v_mov_b32_e32 v4, v3
	v_mov_b32_e32 v3, s1
	v_add_co_u32_e32 v23, vcc, s0, v1
	v_addc_co_u32_e32 v24, vcc, v3, v2, vcc
	global_load_dwordx4 v[41:44], v[23:24], off offset:-40
	v_add_u32_e32 v63, s14, v4
	v_ashrrev_i32_e32 v2, 31, v63
	v_add_co_u32_e32 v1, vcc, v63, v30
	v_addc_co_u32_e32 v2, vcc, v2, v18, vcc
	v_lshlrev_b64 v[1:2], 3, v[1:2]
	buffer_store_dword v4, off, s[24:27], 0 offset:16 ; 4-byte Folded Spill
	v_add_co_u32_e32 v28, vcc, s0, v1
	v_addc_co_u32_e32 v29, vcc, v3, v2, vcc
	global_load_dwordx4 v[45:48], v[28:29], off offset:-40
	v_add_u32_e32 v1, s14, v63
	buffer_store_dword v1, off, s[24:27], 0 offset:8 ; 4-byte Folded Spill
	v_ashrrev_i32_e32 v2, 31, v1
	v_add_co_u32_e32 v1, vcc, v1, v30
	v_addc_co_u32_e32 v2, vcc, v2, v18, vcc
	v_lshlrev_b64 v[1:2], 3, v[1:2]
	v_mul_lo_u32 v4, v0, s14
	v_add_co_u32_e32 v12, vcc, s0, v1
	v_addc_co_u32_e32 v13, vcc, v3, v2, vcc
	global_load_dwordx4 v[49:52], v[12:13], off offset:-40
	v_ashrrev_i32_e32 v1, 31, v4
	v_add_co_u32_e32 v0, vcc, v30, v4
	v_addc_co_u32_e32 v1, vcc, v18, v1, vcc
	v_lshlrev_b64 v[0:1], 3, v[0:1]
	v_mov_b32_e32 v2, s1
	v_add_co_u32_e32 v26, vcc, s0, v0
	v_addc_co_u32_e32 v27, vcc, v2, v1, vcc
	global_load_dwordx4 v[53:56], v[26:27], off offset:-40
	v_add_u32_e32 v3, s14, v4
	v_ashrrev_i32_e32 v1, 31, v3
	v_add_co_u32_e32 v0, vcc, v3, v30
	v_addc_co_u32_e32 v1, vcc, v1, v18, vcc
	v_lshlrev_b64 v[0:1], 3, v[0:1]
	v_add_u32_e32 v25, s14, v3
	v_add_co_u32_e32 v10, vcc, s0, v0
	v_addc_co_u32_e32 v11, vcc, v2, v1, vcc
	global_load_dwordx4 v[57:60], v[10:11], off offset:-40
	v_ashrrev_i32_e32 v1, 31, v25
	v_add_co_u32_e32 v0, vcc, v25, v30
	v_addc_co_u32_e32 v1, vcc, v1, v18, vcc
	v_lshlrev_b64 v[0:1], 3, v[0:1]
	buffer_store_dword v3, off, s[24:27], 0 offset:24 ; 4-byte Folded Spill
	v_add_co_u32_e32 v14, vcc, s0, v0
	v_addc_co_u32_e32 v15, vcc, v2, v1, vcc
	global_load_dwordx4 v[19:22], v[14:15], off offset:-40
	v_add_u32_e32 v3, s14, v25
	v_ashrrev_i32_e32 v1, 31, v3
	v_add_co_u32_e32 v0, vcc, v3, v30
	v_addc_co_u32_e32 v1, vcc, v1, v18, vcc
	v_lshlrev_b64 v[0:1], 3, v[0:1]
	s_mov_b32 s9, 0xbf523456
	v_add_co_u32_e32 v8, vcc, s0, v0
	v_addc_co_u32_e32 v9, vcc, v2, v1, vcc
	v_add_u32_e32 v2, s14, v3
	v_ashrrev_i32_e32 v1, 31, v2
	v_add_co_u32_e32 v0, vcc, v2, v30
	v_addc_co_u32_e32 v1, vcc, v1, v18, vcc
	v_lshlrev_b64 v[0:1], 3, v[0:1]
	v_mov_b32_e32 v6, v2
	v_mov_b32_e32 v2, s1
	v_add_co_u32_e32 v16, vcc, s0, v0
	v_addc_co_u32_e32 v17, vcc, v2, v1, vcc
	s_waitcnt vmcnt(11)
	v_mul_f64 v[0:1], v[33:34], s[8:9]
	s_mov_b32 s5, 0xbf847ae1
	s_mov_b32 s4, 0x47ae147b
	buffer_store_dword v4, off, s[24:27], 0 ; 4-byte Folded Spill
	buffer_store_dword v3, off, s[24:27], 0 offset:20 ; 4-byte Folded Spill
	s_mov_b32 s11, 0xbf899999
	s_mov_b32 s10, 0x9999999a
	;; [unrolled: 1-line block ×3, first 2 shown]
	s_waitcnt vmcnt(12)
	v_fma_f64 v[0:1], v[37:38], s[4:5], v[0:1]
	s_mov_b32 s13, 0xbf5d41d4
	v_add_u32_e32 v33, s14, v6
	s_mov_b32 s7, 0x3f523456
	s_mov_b32 s6, s8
	;; [unrolled: 1-line block ×5, first 2 shown]
	s_waitcnt vmcnt(10)
	v_fma_f64 v[0:1], v[41:42], s[8:9], v[0:1]
	s_mov_b32 s19, 0xbf6b4e81
	s_mov_b32 s15, 0x3f5d41d4
	;; [unrolled: 1-line block ×7, first 2 shown]
	s_waitcnt vmcnt(8)
	v_fma_f64 v[0:1], v[45:46], s[8:9], v[0:1]
	s_mov_b32 s5, 0x3f847ae1
	s_waitcnt vmcnt(6)
	v_fma_f64 v[0:1], v[49:50], s[8:9], v[0:1]
	s_waitcnt vmcnt(5)
	v_fma_f64 v[0:1], v[53:54], s[8:9], v[0:1]
	;; [unrolled: 2-line block ×4, first 2 shown]
	global_load_dwordx4 v[0:3], v[8:9], off offset:-40
	s_waitcnt vmcnt(0)
	v_fma_f64 v[0:1], v[0:1], s[8:9], v[4:5]
	global_load_dwordx2 v[4:5], v[16:17], off offset:-40
	s_waitcnt vmcnt(0)
	v_fma_f64 v[0:1], v[4:5], s[8:9], v[0:1]
	v_mov_b32_e32 v4, s1
	v_fma_f64 v[0:1], v[39:40], s[8:9], v[0:1]
	global_load_dwordx4 v[38:41], v[61:62], off offset:-24
	v_fma_f64 v[0:1], v[35:36], s[10:11], v[0:1]
	s_mov_b32 s11, 0xbf999999
	global_load_dwordx4 v[34:37], v[31:32], off offset:-24
	v_fma_f64 v[0:1], v[43:44], s[12:13], v[0:1]
	global_load_dwordx4 v[42:45], v[23:24], off offset:-24
	v_fma_f64 v[0:1], v[47:48], s[12:13], v[0:1]
	;; [unrolled: 2-line block ×5, first 2 shown]
	v_mov_b32_e32 v60, v6
	v_fma_f64 v[0:1], v[21:22], s[12:13], v[0:1]
	v_mov_b32_e32 v22, s1
	v_fma_f64 v[0:1], v[2:3], s[12:13], v[0:1]
	v_ashrrev_i32_e32 v3, 31, v33
	v_add_co_u32_e32 v2, vcc, v33, v30
	v_addc_co_u32_e32 v3, vcc, v3, v18, vcc
	global_load_dwordx4 v[18:21], v[10:11], off offset:-24
	v_lshlrev_b64 v[2:3], 3, v[2:3]
	v_add_co_u32_e32 v58, vcc, s0, v2
	v_addc_co_u32_e32 v59, vcc, v4, v3, vcc
	global_load_dwordx4 v[4:7], v[58:59], off offset:-32
	global_load_dwordx2 v[2:3], v[14:15], off offset:-24
	s_waitcnt vmcnt(1)
	v_fma_f64 v[0:1], v[4:5], s[6:7], v[0:1]
	v_fma_f64 v[0:1], v[34:35], s[8:9], v[0:1]
	;; [unrolled: 1-line block ×4, first 2 shown]
	s_mov_b32 s17, 0xbf811111
	v_fma_f64 v[0:1], v[46:47], s[18:19], v[0:1]
	v_fma_f64 v[0:1], v[50:51], s[18:19], v[0:1]
	;; [unrolled: 1-line block ×4, first 2 shown]
	v_mov_b32_e32 v18, s1
	v_mov_b32_e32 v19, s1
	s_waitcnt vmcnt(0)
	v_fma_f64 v[4:5], v[2:3], s[18:19], v[0:1]
	global_load_dwordx4 v[0:3], v[16:17], off offset:-24
	s_waitcnt vmcnt(0)
	v_fma_f64 v[0:1], v[0:1], s[14:15], v[4:5]
	v_fma_f64 v[0:1], v[6:7], s[6:7], v[0:1]
	global_load_dwordx4 v[4:7], v[8:9], off offset:-16
	v_fma_f64 v[0:1], v[36:37], s[8:9], v[0:1]
	v_fma_f64 v[0:1], v[40:41], s[12:13], v[0:1]
	;; [unrolled: 1-line block ×4, first 2 shown]
	s_mov_b32 s11, 0xbfa99999
	v_fma_f64 v[0:1], v[52:53], s[16:17], v[0:1]
	v_fma_f64 v[0:1], v[56:57], s[16:17], v[0:1]
	;; [unrolled: 1-line block ×3, first 2 shown]
	s_waitcnt vmcnt(0)
	v_fma_f64 v[0:1], v[4:5], s[20:21], v[0:1]
	v_fma_f64 v[0:1], v[2:3], s[14:15], v[0:1]
	global_load_dwordx2 v[8:9], v[31:32], off offset:-8
	global_load_dwordx4 v[2:5], v[58:59], off offset:-16
	s_waitcnt vmcnt(0)
	v_fma_f64 v[0:1], v[2:3], s[6:7], v[0:1]
	v_fma_f64 v[0:1], v[8:9], s[8:9], v[0:1]
	global_load_dwordx2 v[2:3], v[61:62], off offset:-8
	global_load_dwordx2 v[8:9], v[23:24], off offset:-8
	;; [unrolled: 1-line block ×3, first 2 shown]
	s_nop 0
	global_load_dwordx2 v[12:13], v[12:13], off offset:-8
	v_mov_b32_e32 v23, s1
	s_waitcnt vmcnt(3)
	v_fma_f64 v[0:1], v[2:3], s[12:13], v[0:1]
	global_load_dwordx2 v[2:3], v[26:27], off offset:-8
	s_nop 0
	global_load_dwordx2 v[14:15], v[14:15], off offset:-8
	s_nop 0
	global_load_dwordx2 v[16:17], v[16:17], off offset:-8
	s_waitcnt vmcnt(5)
	v_fma_f64 v[0:1], v[8:9], s[18:19], v[0:1]
	buffer_load_dword v8, off, s[24:27], 0 offset:4 ; 4-byte Folded Reload
	s_waitcnt vmcnt(5)
	v_fma_f64 v[0:1], v[10:11], s[16:17], v[0:1]
	buffer_load_dword v10, off, s[24:27], 0 offset:12 ; 4-byte Folded Reload
	v_mov_b32_e32 v11, s1
	s_waitcnt vmcnt(5)
	v_fma_f64 v[0:1], v[12:13], s[10:11], v[0:1]
	s_waitcnt vmcnt(4)
	v_fma_f64 v[12:13], v[2:3], s[10:11], v[0:1]
	;; [unrolled: 2-line block ×3, first 2 shown]
	v_mov_b32_e32 v14, s1
	v_mov_b32_e32 v15, s1
	v_fma_f64 v[6:7], v[6:7], s[20:21], v[12:13]
	buffer_load_dword v12, off, s[24:27], 0 offset:24 ; 4-byte Folded Reload
	s_waitcnt vmcnt(2)
	v_add_u32_e32 v8, v8, v30
	v_ashrrev_i32_e32 v9, 31, v8
	v_lshlrev_b64 v[8:9], 3, v[8:9]
	s_waitcnt vmcnt(1)
	v_add_u32_e32 v10, v10, v30
	v_add_co_u32_e32 v43, vcc, s0, v8
	v_fma_f64 v[6:7], v[16:17], s[14:15], v[6:7]
	v_addc_co_u32_e32 v44, vcc, v11, v9, vcc
	v_ashrrev_i32_e32 v11, 31, v10
	v_lshlrev_b64 v[8:9], 3, v[10:11]
	v_mov_b32_e32 v16, s1
	v_add_co_u32_e32 v20, vcc, s0, v8
	v_fma_f64 v[4:5], v[4:5], s[6:7], v[6:7]
	v_addc_co_u32_e32 v21, vcc, v18, v9, vcc
	v_mov_b32_e32 v17, s1
	global_load_dwordx4 v[0:3], v[43:44], off
	global_load_dwordx4 v[8:11], v[20:21], off
	s_waitcnt vmcnt(2)
	v_add_u32_e32 v12, v12, v30
	v_ashrrev_i32_e32 v13, 31, v12
	v_lshlrev_b64 v[6:7], 3, v[12:13]
	v_add_co_u32_e32 v45, vcc, s0, v6
	v_add_u32_e32 v6, v25, v30
	v_addc_co_u32_e32 v46, vcc, v14, v7, vcc
	v_ashrrev_i32_e32 v7, 31, v6
	v_lshlrev_b64 v[6:7], 3, v[6:7]
	v_add_co_u32_e32 v47, vcc, s0, v6
	buffer_load_dword v6, off, s[24:27], 0 offset:16 ; 4-byte Folded Reload
	v_addc_co_u32_e32 v48, vcc, v15, v7, vcc
	s_waitcnt vmcnt(0)
	v_add_u32_e32 v6, v6, v30
	v_ashrrev_i32_e32 v7, 31, v6
	v_lshlrev_b64 v[6:7], 3, v[6:7]
	v_add_co_u32_e32 v49, vcc, s0, v6
	buffer_load_dword v6, off, s[24:27], 0 offset:20 ; 4-byte Folded Reload
	v_addc_co_u32_e32 v50, vcc, v16, v7, vcc
	s_waitcnt vmcnt(0)
	v_add_u32_e32 v6, v6, v30
	v_ashrrev_i32_e32 v7, 31, v6
	v_lshlrev_b64 v[6:7], 3, v[6:7]
	v_add_co_u32_e32 v51, vcc, s0, v6
	v_add_u32_e32 v6, v63, v30
	v_addc_co_u32_e32 v52, vcc, v17, v7, vcc
	v_ashrrev_i32_e32 v7, 31, v6
	v_lshlrev_b64 v[6:7], 3, v[6:7]
	v_add_co_u32_e32 v28, vcc, s0, v6
	v_add_u32_e32 v6, v60, v30
	v_addc_co_u32_e32 v29, vcc, v18, v7, vcc
	global_load_dwordx4 v[12:15], v[28:29], off
	v_ashrrev_i32_e32 v7, 31, v6
	v_lshlrev_b64 v[6:7], 3, v[6:7]
	v_add_co_u32_e32 v53, vcc, s0, v6
	buffer_load_dword v6, off, s[24:27], 0 offset:8 ; 4-byte Folded Reload
	v_addc_co_u32_e32 v54, vcc, v19, v7, vcc
	global_load_dwordx4 v[16:19], v[45:46], off
	v_fma_f64 v[0:1], v[0:1], s[8:9], v[4:5]
	v_add_u32_e32 v4, v33, v30
	v_ashrrev_i32_e32 v5, 31, v4
	v_lshlrev_b64 v[4:5], 3, v[4:5]
	global_load_dwordx4 v[31:34], v[51:52], off
	global_load_dwordx4 v[35:38], v[53:54], off
	v_fma_f64 v[0:1], v[8:9], s[12:13], v[0:1]
	s_waitcnt vmcnt(3)
	v_add_u32_e32 v6, v6, v30
	v_ashrrev_i32_e32 v7, 31, v6
	v_lshlrev_b64 v[6:7], 3, v[6:7]
	v_add_co_u32_e32 v55, vcc, s0, v6
	v_addc_co_u32_e32 v56, vcc, v22, v7, vcc
	v_add_co_u32_e32 v57, vcc, s0, v4
	v_addc_co_u32_e32 v58, vcc, v23, v5, vcc
	global_load_dwordx4 v[4:7], v[49:50], off
	global_load_dwordx4 v[22:25], v[47:48], off
	;; [unrolled: 1-line block ×3, first 2 shown]
	s_waitcnt vmcnt(2)
	v_fma_f64 v[0:1], v[4:5], s[18:19], v[0:1]
	global_load_dwordx2 v[4:5], v[55:56], off
	v_fma_f64 v[0:1], v[12:13], s[16:17], v[0:1]
	s_waitcnt vmcnt(0)
	v_fma_f64 v[0:1], v[4:5], s[10:11], v[0:1]
	s_mov_b32 s11, 0x3fa99999
	v_fma_f64 v[0:1], v[16:17], s[10:11], v[0:1]
	v_fma_f64 v[0:1], v[22:23], s[22:23], v[0:1]
	;; [unrolled: 1-line block ×7, first 2 shown]
	global_load_dwordx4 v[8:11], v[20:21], off offset:16
	v_fma_f64 v[0:1], v[6:7], s[18:19], v[0:1]
	v_fma_f64 v[4:5], v[14:15], s[16:17], v[0:1]
	global_load_dwordx4 v[0:3], v[26:27], off offset:8
	global_load_dwordx4 v[12:15], v[55:56], off offset:16
	s_mov_b32 s17, 0x3f911111
	s_waitcnt vmcnt(1)
	v_fma_f64 v[0:1], v[0:1], s[10:11], v[4:5]
	global_load_dwordx4 v[4:7], v[43:44], off offset:16
	v_fma_f64 v[0:1], v[18:19], s[10:11], v[0:1]
	global_load_dwordx4 v[16:19], v[47:48], off offset:16
	s_mov_b32 s11, 0x3f999999
	v_fma_f64 v[0:1], v[24:25], s[22:23], v[0:1]
	global_load_dwordx4 v[22:25], v[51:52], off offset:16
	v_fma_f64 v[0:1], v[33:34], s[20:21], v[0:1]
	global_load_dwordx4 v[31:34], v[53:54], off offset:16
	;; [unrolled: 2-line block ×3, first 2 shown]
	v_fma_f64 v[0:1], v[41:42], s[6:7], v[0:1]
	s_waitcnt vmcnt(4)
	v_fma_f64 v[0:1], v[4:5], s[8:9], v[0:1]
	global_load_dwordx2 v[4:5], v[49:50], off offset:16
	v_fma_f64 v[0:1], v[8:9], s[12:13], v[0:1]
	s_waitcnt vmcnt(0)
	v_fma_f64 v[0:1], v[4:5], s[18:19], v[0:1]
	v_fma_f64 v[0:1], v[12:13], s[22:23], v[0:1]
	;; [unrolled: 1-line block ×3, first 2 shown]
	global_load_dwordx4 v[0:3], v[45:46], off offset:16
	s_waitcnt vmcnt(0)
	v_fma_f64 v[0:1], v[0:1], s[22:23], v[4:5]
	v_fma_f64 v[0:1], v[16:17], s[10:11], v[0:1]
	s_mov_b32 s11, 0x3f899999
	v_fma_f64 v[0:1], v[22:23], s[20:21], v[0:1]
	v_fma_f64 v[0:1], v[31:32], s[14:15], v[0:1]
	;; [unrolled: 1-line block ×4, first 2 shown]
	global_load_dwordx4 v[4:7], v[28:29], off offset:24
	v_fma_f64 v[0:1], v[10:11], s[12:13], v[0:1]
	global_load_dwordx4 v[10:13], v[26:27], off offset:24
	s_waitcnt vmcnt(1)
	v_fma_f64 v[0:1], v[4:5], s[20:21], v[0:1]
	v_fma_f64 v[0:1], v[14:15], s[20:21], v[0:1]
	s_waitcnt vmcnt(0)
	v_fma_f64 v[0:1], v[10:11], s[20:21], v[0:1]
	v_fma_f64 v[0:1], v[2:3], s[20:21], v[0:1]
	;; [unrolled: 1-line block ×3, first 2 shown]
	v_mov_b32_e32 v18, s3
	v_fma_f64 v[0:1], v[24:25], s[16:17], v[0:1]
	global_load_dwordx2 v[2:3], v[43:44], off offset:32
	global_load_dwordx4 v[22:25], v[49:50], off offset:32
	buffer_load_dword v14, off, s[24:27], 0 ; 4-byte Folded Reload
	v_fma_f64 v[0:1], v[33:34], s[14:15], v[0:1]
	v_fma_f64 v[0:1], v[37:38], s[6:7], v[0:1]
	s_waitcnt vmcnt(2)
	v_fma_f64 v[4:5], v[2:3], s[8:9], v[0:1]
	global_load_dwordx4 v[0:3], v[55:56], off offset:32
	s_waitcnt vmcnt(1)
	v_add_u32_e32 v16, v14, v30
	v_ashrrev_i32_e32 v17, 31, v16
	v_fma_f64 v[4:5], v[22:23], s[14:15], v[4:5]
	v_fma_f64 v[8:9], v[6:7], s[14:15], v[4:5]
	global_load_dwordx4 v[4:7], v[45:46], off offset:32
	s_waitcnt vmcnt(1)
	v_fma_f64 v[0:1], v[0:1], s[14:15], v[8:9]
	global_load_dwordx4 v[8:11], v[47:48], off offset:32
	v_fma_f64 v[22:23], v[12:13], s[14:15], v[0:1]
	global_load_dwordx4 v[12:15], v[51:52], off offset:32
	v_lshlrev_b64 v[0:1], 3, v[16:17]
	v_add_co_u32_e32 v0, vcc, s2, v0
	v_addc_co_u32_e32 v1, vcc, v18, v1, vcc
	global_load_dwordx4 v[16:19], v[53:54], off offset:32
	s_waitcnt vmcnt(3)
	v_fma_f64 v[4:5], v[4:5], s[14:15], v[22:23]
	s_waitcnt vmcnt(2)
	v_fma_f64 v[4:5], v[8:9], s[14:15], v[4:5]
	global_load_dwordx2 v[8:9], v[20:21], off offset:40
	s_waitcnt vmcnt(2)
	v_fma_f64 v[4:5], v[12:13], s[14:15], v[4:5]
	global_load_dwordx4 v[20:23], v[57:58], off offset:32
	s_waitcnt vmcnt(2)
	v_fma_f64 v[4:5], v[16:17], s[10:11], v[4:5]
	s_waitcnt vmcnt(0)
	v_fma_f64 v[4:5], v[20:21], s[6:7], v[4:5]
	v_fma_f64 v[8:9], v[8:9], s[6:7], v[4:5]
	global_load_dwordx2 v[4:5], v[28:29], off offset:40
	global_load_dwordx2 v[12:13], v[26:27], off offset:40
	global_load_dwordx2 v[16:17], v[0:1], off
	v_fma_f64 v[8:9], v[24:25], s[6:7], v[8:9]
	s_waitcnt vmcnt(2)
	v_fma_f64 v[4:5], v[4:5], s[6:7], v[8:9]
	v_fma_f64 v[2:3], v[2:3], s[6:7], v[4:5]
	s_waitcnt vmcnt(1)
	v_fma_f64 v[2:3], v[12:13], s[6:7], v[2:3]
	v_fma_f64 v[2:3], v[6:7], s[6:7], v[2:3]
	;; [unrolled: 1-line block ×6, first 2 shown]
	s_waitcnt vmcnt(0)
	v_add_f64 v[2:3], v[16:17], v[2:3]
	global_store_dwordx2 v[0:1], v[2:3], off
.LBB9_2:
	s_endpgm
	.section	.rodata,"a",@progbits
	.p2align	6, 0x0
	.amdhsa_kernel _Z5grid5iPKdPd
		.amdhsa_group_segment_fixed_size 0
		.amdhsa_private_segment_fixed_size 32
		.amdhsa_kernarg_size 280
		.amdhsa_user_sgpr_count 6
		.amdhsa_user_sgpr_private_segment_buffer 1
		.amdhsa_user_sgpr_dispatch_ptr 0
		.amdhsa_user_sgpr_queue_ptr 0
		.amdhsa_user_sgpr_kernarg_segment_ptr 1
		.amdhsa_user_sgpr_dispatch_id 0
		.amdhsa_user_sgpr_flat_scratch_init 0
		.amdhsa_user_sgpr_private_segment_size 0
		.amdhsa_uses_dynamic_stack 0
		.amdhsa_system_sgpr_private_segment_wavefront_offset 1
		.amdhsa_system_sgpr_workgroup_id_x 1
		.amdhsa_system_sgpr_workgroup_id_y 1
		.amdhsa_system_sgpr_workgroup_id_z 0
		.amdhsa_system_sgpr_workgroup_info 0
		.amdhsa_system_vgpr_workitem_id 1
		.amdhsa_next_free_vgpr 64
		.amdhsa_next_free_sgpr 28
		.amdhsa_reserve_vcc 1
		.amdhsa_reserve_flat_scratch 0
		.amdhsa_float_round_mode_32 0
		.amdhsa_float_round_mode_16_64 0
		.amdhsa_float_denorm_mode_32 3
		.amdhsa_float_denorm_mode_16_64 3
		.amdhsa_dx10_clamp 1
		.amdhsa_ieee_mode 1
		.amdhsa_fp16_overflow 0
		.amdhsa_exception_fp_ieee_invalid_op 0
		.amdhsa_exception_fp_denorm_src 0
		.amdhsa_exception_fp_ieee_div_zero 0
		.amdhsa_exception_fp_ieee_overflow 0
		.amdhsa_exception_fp_ieee_underflow 0
		.amdhsa_exception_fp_ieee_inexact 0
		.amdhsa_exception_int_div_zero 0
	.end_amdhsa_kernel
	.text
.Lfunc_end9:
	.size	_Z5grid5iPKdPd, .Lfunc_end9-_Z5grid5iPKdPd
                                        ; -- End function
	.section	.AMDGPU.csdata,"",@progbits
; Kernel info:
; codeLenInByte = 2756
; NumSgprs: 32
; NumVgprs: 64
; ScratchSize: 32
; MemoryBound: 0
; FloatMode: 240
; IeeeMode: 1
; LDSByteSize: 0 bytes/workgroup (compile time only)
; SGPRBlocks: 3
; VGPRBlocks: 15
; NumSGPRsForWavesPerEU: 32
; NumVGPRsForWavesPerEU: 64
; Occupancy: 4
; WaveLimiterHint : 0
; COMPUTE_PGM_RSRC2:SCRATCH_EN: 1
; COMPUTE_PGM_RSRC2:USER_SGPR: 6
; COMPUTE_PGM_RSRC2:TRAP_HANDLER: 0
; COMPUTE_PGM_RSRC2:TGID_X_EN: 1
; COMPUTE_PGM_RSRC2:TGID_Y_EN: 1
; COMPUTE_PGM_RSRC2:TGID_Z_EN: 0
; COMPUTE_PGM_RSRC2:TIDIG_COMP_CNT: 1
	.text
	.protected	_Z7nothingiPKdPd        ; -- Begin function _Z7nothingiPKdPd
	.globl	_Z7nothingiPKdPd
	.p2align	8
	.type	_Z7nothingiPKdPd,@function
_Z7nothingiPKdPd:                       ; @_Z7nothingiPKdPd
; %bb.0:
	s_endpgm
	.section	.rodata,"a",@progbits
	.p2align	6, 0x0
	.amdhsa_kernel _Z7nothingiPKdPd
		.amdhsa_group_segment_fixed_size 0
		.amdhsa_private_segment_fixed_size 0
		.amdhsa_kernarg_size 24
		.amdhsa_user_sgpr_count 6
		.amdhsa_user_sgpr_private_segment_buffer 1
		.amdhsa_user_sgpr_dispatch_ptr 0
		.amdhsa_user_sgpr_queue_ptr 0
		.amdhsa_user_sgpr_kernarg_segment_ptr 1
		.amdhsa_user_sgpr_dispatch_id 0
		.amdhsa_user_sgpr_flat_scratch_init 0
		.amdhsa_user_sgpr_private_segment_size 0
		.amdhsa_uses_dynamic_stack 0
		.amdhsa_system_sgpr_private_segment_wavefront_offset 0
		.amdhsa_system_sgpr_workgroup_id_x 1
		.amdhsa_system_sgpr_workgroup_id_y 0
		.amdhsa_system_sgpr_workgroup_id_z 0
		.amdhsa_system_sgpr_workgroup_info 0
		.amdhsa_system_vgpr_workitem_id 0
		.amdhsa_next_free_vgpr 1
		.amdhsa_next_free_sgpr 0
		.amdhsa_reserve_vcc 0
		.amdhsa_reserve_flat_scratch 0
		.amdhsa_float_round_mode_32 0
		.amdhsa_float_round_mode_16_64 0
		.amdhsa_float_denorm_mode_32 3
		.amdhsa_float_denorm_mode_16_64 3
		.amdhsa_dx10_clamp 1
		.amdhsa_ieee_mode 1
		.amdhsa_fp16_overflow 0
		.amdhsa_exception_fp_ieee_invalid_op 0
		.amdhsa_exception_fp_denorm_src 0
		.amdhsa_exception_fp_ieee_div_zero 0
		.amdhsa_exception_fp_ieee_overflow 0
		.amdhsa_exception_fp_ieee_underflow 0
		.amdhsa_exception_fp_ieee_inexact 0
		.amdhsa_exception_int_div_zero 0
	.end_amdhsa_kernel
	.text
.Lfunc_end10:
	.size	_Z7nothingiPKdPd, .Lfunc_end10-_Z7nothingiPKdPd
                                        ; -- End function
	.section	.AMDGPU.csdata,"",@progbits
; Kernel info:
; codeLenInByte = 4
; NumSgprs: 4
; NumVgprs: 0
; ScratchSize: 0
; MemoryBound: 0
; FloatMode: 240
; IeeeMode: 1
; LDSByteSize: 0 bytes/workgroup (compile time only)
; SGPRBlocks: 0
; VGPRBlocks: 0
; NumSGPRsForWavesPerEU: 4
; NumVGPRsForWavesPerEU: 1
; Occupancy: 8
; WaveLimiterHint : 0
; COMPUTE_PGM_RSRC2:SCRATCH_EN: 0
; COMPUTE_PGM_RSRC2:USER_SGPR: 6
; COMPUTE_PGM_RSRC2:TRAP_HANDLER: 0
; COMPUTE_PGM_RSRC2:TGID_X_EN: 1
; COMPUTE_PGM_RSRC2:TGID_Y_EN: 0
; COMPUTE_PGM_RSRC2:TGID_Z_EN: 0
; COMPUTE_PGM_RSRC2:TIDIG_COMP_CNT: 0
	.text
	.protected	_Z3addiPd               ; -- Begin function _Z3addiPd
	.globl	_Z3addiPd
	.p2align	8
	.type	_Z3addiPd,@function
_Z3addiPd:                              ; @_Z3addiPd
; %bb.0:
	s_load_dword s1, s[4:5], 0x1c
	s_load_dword s0, s[4:5], 0x0
	s_waitcnt lgkmcnt(0)
	s_lshr_b32 s2, s1, 16
	s_and_b32 s1, s1, 0xffff
	s_mul_i32 s6, s6, s1
	s_mul_i32 s7, s7, s2
	v_add_u32_e32 v2, s6, v0
	v_add_u32_e32 v0, s7, v1
	v_max_u32_e32 v1, v2, v0
	v_cmp_gt_u32_e32 vcc, s0, v1
	s_and_saveexec_b64 s[2:3], vcc
	s_cbranch_execz .LBB11_2
; %bb.1:
	v_mad_u64_u32 v[0:1], s[0:1], v2, s0, v[0:1]
	s_load_dwordx2 s[2:3], s[4:5], 0x8
	v_mov_b32_e32 v1, 0
	v_lshlrev_b64 v[0:1], 3, v[0:1]
	s_waitcnt lgkmcnt(0)
	v_mov_b32_e32 v2, s3
	v_add_co_u32_e32 v0, vcc, s2, v0
	v_addc_co_u32_e32 v1, vcc, v2, v1, vcc
	global_load_dwordx2 v[2:3], v[0:1], off
	s_waitcnt vmcnt(0)
	v_add_f64 v[2:3], v[2:3], 1.0
	global_store_dwordx2 v[0:1], v[2:3], off
.LBB11_2:
	s_endpgm
	.section	.rodata,"a",@progbits
	.p2align	6, 0x0
	.amdhsa_kernel _Z3addiPd
		.amdhsa_group_segment_fixed_size 0
		.amdhsa_private_segment_fixed_size 0
		.amdhsa_kernarg_size 272
		.amdhsa_user_sgpr_count 6
		.amdhsa_user_sgpr_private_segment_buffer 1
		.amdhsa_user_sgpr_dispatch_ptr 0
		.amdhsa_user_sgpr_queue_ptr 0
		.amdhsa_user_sgpr_kernarg_segment_ptr 1
		.amdhsa_user_sgpr_dispatch_id 0
		.amdhsa_user_sgpr_flat_scratch_init 0
		.amdhsa_user_sgpr_private_segment_size 0
		.amdhsa_uses_dynamic_stack 0
		.amdhsa_system_sgpr_private_segment_wavefront_offset 0
		.amdhsa_system_sgpr_workgroup_id_x 1
		.amdhsa_system_sgpr_workgroup_id_y 1
		.amdhsa_system_sgpr_workgroup_id_z 0
		.amdhsa_system_sgpr_workgroup_info 0
		.amdhsa_system_vgpr_workitem_id 1
		.amdhsa_next_free_vgpr 4
		.amdhsa_next_free_sgpr 8
		.amdhsa_reserve_vcc 1
		.amdhsa_reserve_flat_scratch 0
		.amdhsa_float_round_mode_32 0
		.amdhsa_float_round_mode_16_64 0
		.amdhsa_float_denorm_mode_32 3
		.amdhsa_float_denorm_mode_16_64 3
		.amdhsa_dx10_clamp 1
		.amdhsa_ieee_mode 1
		.amdhsa_fp16_overflow 0
		.amdhsa_exception_fp_ieee_invalid_op 0
		.amdhsa_exception_fp_denorm_src 0
		.amdhsa_exception_fp_ieee_div_zero 0
		.amdhsa_exception_fp_ieee_overflow 0
		.amdhsa_exception_fp_ieee_underflow 0
		.amdhsa_exception_fp_ieee_inexact 0
		.amdhsa_exception_int_div_zero 0
	.end_amdhsa_kernel
	.text
.Lfunc_end11:
	.size	_Z3addiPd, .Lfunc_end11-_Z3addiPd
                                        ; -- End function
	.section	.AMDGPU.csdata,"",@progbits
; Kernel info:
; codeLenInByte = 140
; NumSgprs: 12
; NumVgprs: 4
; ScratchSize: 0
; MemoryBound: 0
; FloatMode: 240
; IeeeMode: 1
; LDSByteSize: 0 bytes/workgroup (compile time only)
; SGPRBlocks: 1
; VGPRBlocks: 0
; NumSGPRsForWavesPerEU: 12
; NumVGPRsForWavesPerEU: 4
; Occupancy: 8
; WaveLimiterHint : 0
; COMPUTE_PGM_RSRC2:SCRATCH_EN: 0
; COMPUTE_PGM_RSRC2:USER_SGPR: 6
; COMPUTE_PGM_RSRC2:TRAP_HANDLER: 0
; COMPUTE_PGM_RSRC2:TGID_X_EN: 1
; COMPUTE_PGM_RSRC2:TGID_Y_EN: 1
; COMPUTE_PGM_RSRC2:TGID_Z_EN: 0
; COMPUTE_PGM_RSRC2:TIDIG_COMP_CNT: 1
	.type	__hip_cuid_57d9a5fd1859a5c0,@object ; @__hip_cuid_57d9a5fd1859a5c0
	.section	.bss,"aw",@nobits
	.globl	__hip_cuid_57d9a5fd1859a5c0
__hip_cuid_57d9a5fd1859a5c0:
	.byte	0                               ; 0x0
	.size	__hip_cuid_57d9a5fd1859a5c0, 1

	.ident	"AMD clang version 19.0.0git (https://github.com/RadeonOpenCompute/llvm-project roc-6.4.0 25133 c7fe45cf4b819c5991fe208aaa96edf142730f1d)"
	.section	".note.GNU-stack","",@progbits
	.addrsig
	.addrsig_sym __hip_cuid_57d9a5fd1859a5c0
	.amdgpu_metadata
---
amdhsa.kernels:
  - .args:
      - .offset:         0
        .size:           4
        .value_kind:     by_value
      - .address_space:  global
        .offset:         8
        .size:           8
        .value_kind:     global_buffer
      - .address_space:  global
        .offset:         16
        .size:           8
        .value_kind:     global_buffer
      - .offset:         24
        .size:           4
        .value_kind:     hidden_block_count_x
      - .offset:         28
        .size:           4
        .value_kind:     hidden_block_count_y
      - .offset:         32
        .size:           4
        .value_kind:     hidden_block_count_z
      - .offset:         36
        .size:           2
        .value_kind:     hidden_group_size_x
      - .offset:         38
        .size:           2
        .value_kind:     hidden_group_size_y
      - .offset:         40
        .size:           2
        .value_kind:     hidden_group_size_z
      - .offset:         42
        .size:           2
        .value_kind:     hidden_remainder_x
      - .offset:         44
        .size:           2
        .value_kind:     hidden_remainder_y
      - .offset:         46
        .size:           2
        .value_kind:     hidden_remainder_z
      - .offset:         64
        .size:           8
        .value_kind:     hidden_global_offset_x
      - .offset:         72
        .size:           8
        .value_kind:     hidden_global_offset_y
      - .offset:         80
        .size:           8
        .value_kind:     hidden_global_offset_z
      - .offset:         88
        .size:           2
        .value_kind:     hidden_grid_dims
    .group_segment_fixed_size: 0
    .kernarg_segment_align: 8
    .kernarg_segment_size: 280
    .language:       OpenCL C
    .language_version:
      - 2
      - 0
    .max_flat_workgroup_size: 1024
    .name:           _Z5star1iPKdPd
    .private_segment_fixed_size: 0
    .sgpr_count:     13
    .sgpr_spill_count: 0
    .symbol:         _Z5star1iPKdPd.kd
    .uniform_work_group_size: 1
    .uses_dynamic_stack: false
    .vgpr_count:     15
    .vgpr_spill_count: 0
    .wavefront_size: 64
  - .args:
      - .offset:         0
        .size:           4
        .value_kind:     by_value
      - .address_space:  global
        .offset:         8
        .size:           8
        .value_kind:     global_buffer
      - .address_space:  global
        .offset:         16
        .size:           8
        .value_kind:     global_buffer
      - .offset:         24
        .size:           4
        .value_kind:     hidden_block_count_x
      - .offset:         28
        .size:           4
        .value_kind:     hidden_block_count_y
      - .offset:         32
        .size:           4
        .value_kind:     hidden_block_count_z
      - .offset:         36
        .size:           2
        .value_kind:     hidden_group_size_x
      - .offset:         38
        .size:           2
        .value_kind:     hidden_group_size_y
      - .offset:         40
        .size:           2
        .value_kind:     hidden_group_size_z
      - .offset:         42
        .size:           2
        .value_kind:     hidden_remainder_x
      - .offset:         44
        .size:           2
        .value_kind:     hidden_remainder_y
      - .offset:         46
        .size:           2
        .value_kind:     hidden_remainder_z
      - .offset:         64
        .size:           8
        .value_kind:     hidden_global_offset_x
      - .offset:         72
        .size:           8
        .value_kind:     hidden_global_offset_y
      - .offset:         80
        .size:           8
        .value_kind:     hidden_global_offset_z
      - .offset:         88
        .size:           2
        .value_kind:     hidden_grid_dims
    .group_segment_fixed_size: 0
    .kernarg_segment_align: 8
    .kernarg_segment_size: 280
    .language:       OpenCL C
    .language_version:
      - 2
      - 0
    .max_flat_workgroup_size: 1024
    .name:           _Z5star2iPKdPd
    .private_segment_fixed_size: 0
    .sgpr_count:     13
    .sgpr_spill_count: 0
    .symbol:         _Z5star2iPKdPd.kd
    .uniform_work_group_size: 1
    .uses_dynamic_stack: false
    .vgpr_count:     22
    .vgpr_spill_count: 0
    .wavefront_size: 64
  - .args:
      - .offset:         0
        .size:           4
        .value_kind:     by_value
      - .address_space:  global
        .offset:         8
        .size:           8
        .value_kind:     global_buffer
      - .address_space:  global
        .offset:         16
        .size:           8
        .value_kind:     global_buffer
      - .offset:         24
        .size:           4
        .value_kind:     hidden_block_count_x
      - .offset:         28
        .size:           4
        .value_kind:     hidden_block_count_y
      - .offset:         32
        .size:           4
        .value_kind:     hidden_block_count_z
      - .offset:         36
        .size:           2
        .value_kind:     hidden_group_size_x
      - .offset:         38
        .size:           2
        .value_kind:     hidden_group_size_y
      - .offset:         40
        .size:           2
        .value_kind:     hidden_group_size_z
      - .offset:         42
        .size:           2
        .value_kind:     hidden_remainder_x
      - .offset:         44
        .size:           2
        .value_kind:     hidden_remainder_y
      - .offset:         46
        .size:           2
        .value_kind:     hidden_remainder_z
      - .offset:         64
        .size:           8
        .value_kind:     hidden_global_offset_x
      - .offset:         72
        .size:           8
        .value_kind:     hidden_global_offset_y
      - .offset:         80
        .size:           8
        .value_kind:     hidden_global_offset_z
      - .offset:         88
        .size:           2
        .value_kind:     hidden_grid_dims
    .group_segment_fixed_size: 0
    .kernarg_segment_align: 8
    .kernarg_segment_size: 280
    .language:       OpenCL C
    .language_version:
      - 2
      - 0
    .max_flat_workgroup_size: 1024
    .name:           _Z5star3iPKdPd
    .private_segment_fixed_size: 0
    .sgpr_count:     13
    .sgpr_spill_count: 0
    .symbol:         _Z5star3iPKdPd.kd
    .uniform_work_group_size: 1
    .uses_dynamic_stack: false
    .vgpr_count:     28
    .vgpr_spill_count: 0
    .wavefront_size: 64
  - .args:
      - .offset:         0
        .size:           4
        .value_kind:     by_value
      - .address_space:  global
        .offset:         8
        .size:           8
        .value_kind:     global_buffer
      - .address_space:  global
        .offset:         16
        .size:           8
        .value_kind:     global_buffer
      - .offset:         24
        .size:           4
        .value_kind:     hidden_block_count_x
      - .offset:         28
        .size:           4
        .value_kind:     hidden_block_count_y
      - .offset:         32
        .size:           4
        .value_kind:     hidden_block_count_z
      - .offset:         36
        .size:           2
        .value_kind:     hidden_group_size_x
      - .offset:         38
        .size:           2
        .value_kind:     hidden_group_size_y
      - .offset:         40
        .size:           2
        .value_kind:     hidden_group_size_z
      - .offset:         42
        .size:           2
        .value_kind:     hidden_remainder_x
      - .offset:         44
        .size:           2
        .value_kind:     hidden_remainder_y
      - .offset:         46
        .size:           2
        .value_kind:     hidden_remainder_z
      - .offset:         64
        .size:           8
        .value_kind:     hidden_global_offset_x
      - .offset:         72
        .size:           8
        .value_kind:     hidden_global_offset_y
      - .offset:         80
        .size:           8
        .value_kind:     hidden_global_offset_z
      - .offset:         88
        .size:           2
        .value_kind:     hidden_grid_dims
    .group_segment_fixed_size: 0
    .kernarg_segment_align: 8
    .kernarg_segment_size: 280
    .language:       OpenCL C
    .language_version:
      - 2
      - 0
    .max_flat_workgroup_size: 1024
    .name:           _Z5star4iPKdPd
    .private_segment_fixed_size: 0
    .sgpr_count:     14
    .sgpr_spill_count: 0
    .symbol:         _Z5star4iPKdPd.kd
    .uniform_work_group_size: 1
    .uses_dynamic_stack: false
    .vgpr_count:     36
    .vgpr_spill_count: 0
    .wavefront_size: 64
  - .args:
      - .offset:         0
        .size:           4
        .value_kind:     by_value
      - .address_space:  global
        .offset:         8
        .size:           8
        .value_kind:     global_buffer
      - .address_space:  global
        .offset:         16
        .size:           8
        .value_kind:     global_buffer
      - .offset:         24
        .size:           4
        .value_kind:     hidden_block_count_x
      - .offset:         28
        .size:           4
        .value_kind:     hidden_block_count_y
      - .offset:         32
        .size:           4
        .value_kind:     hidden_block_count_z
      - .offset:         36
        .size:           2
        .value_kind:     hidden_group_size_x
      - .offset:         38
        .size:           2
        .value_kind:     hidden_group_size_y
      - .offset:         40
        .size:           2
        .value_kind:     hidden_group_size_z
      - .offset:         42
        .size:           2
        .value_kind:     hidden_remainder_x
      - .offset:         44
        .size:           2
        .value_kind:     hidden_remainder_y
      - .offset:         46
        .size:           2
        .value_kind:     hidden_remainder_z
      - .offset:         64
        .size:           8
        .value_kind:     hidden_global_offset_x
      - .offset:         72
        .size:           8
        .value_kind:     hidden_global_offset_y
      - .offset:         80
        .size:           8
        .value_kind:     hidden_global_offset_z
      - .offset:         88
        .size:           2
        .value_kind:     hidden_grid_dims
    .group_segment_fixed_size: 0
    .kernarg_segment_align: 8
    .kernarg_segment_size: 280
    .language:       OpenCL C
    .language_version:
      - 2
      - 0
    .max_flat_workgroup_size: 1024
    .name:           _Z5star5iPKdPd
    .private_segment_fixed_size: 0
    .sgpr_count:     22
    .sgpr_spill_count: 0
    .symbol:         _Z5star5iPKdPd.kd
    .uniform_work_group_size: 1
    .uses_dynamic_stack: false
    .vgpr_count:     15
    .vgpr_spill_count: 0
    .wavefront_size: 64
  - .args:
      - .offset:         0
        .size:           4
        .value_kind:     by_value
      - .address_space:  global
        .offset:         8
        .size:           8
        .value_kind:     global_buffer
      - .address_space:  global
        .offset:         16
        .size:           8
        .value_kind:     global_buffer
      - .offset:         24
        .size:           4
        .value_kind:     hidden_block_count_x
      - .offset:         28
        .size:           4
        .value_kind:     hidden_block_count_y
      - .offset:         32
        .size:           4
        .value_kind:     hidden_block_count_z
      - .offset:         36
        .size:           2
        .value_kind:     hidden_group_size_x
      - .offset:         38
        .size:           2
        .value_kind:     hidden_group_size_y
      - .offset:         40
        .size:           2
        .value_kind:     hidden_group_size_z
      - .offset:         42
        .size:           2
        .value_kind:     hidden_remainder_x
      - .offset:         44
        .size:           2
        .value_kind:     hidden_remainder_y
      - .offset:         46
        .size:           2
        .value_kind:     hidden_remainder_z
      - .offset:         64
        .size:           8
        .value_kind:     hidden_global_offset_x
      - .offset:         72
        .size:           8
        .value_kind:     hidden_global_offset_y
      - .offset:         80
        .size:           8
        .value_kind:     hidden_global_offset_z
      - .offset:         88
        .size:           2
        .value_kind:     hidden_grid_dims
    .group_segment_fixed_size: 0
    .kernarg_segment_align: 8
    .kernarg_segment_size: 280
    .language:       OpenCL C
    .language_version:
      - 2
      - 0
    .max_flat_workgroup_size: 1024
    .name:           _Z5grid1iPKdPd
    .private_segment_fixed_size: 0
    .sgpr_count:     13
    .sgpr_spill_count: 0
    .symbol:         _Z5grid1iPKdPd.kd
    .uniform_work_group_size: 1
    .uses_dynamic_stack: false
    .vgpr_count:     17
    .vgpr_spill_count: 0
    .wavefront_size: 64
  - .args:
      - .offset:         0
        .size:           4
        .value_kind:     by_value
      - .address_space:  global
        .offset:         8
        .size:           8
        .value_kind:     global_buffer
      - .address_space:  global
        .offset:         16
        .size:           8
        .value_kind:     global_buffer
      - .offset:         24
        .size:           4
        .value_kind:     hidden_block_count_x
      - .offset:         28
        .size:           4
        .value_kind:     hidden_block_count_y
      - .offset:         32
        .size:           4
        .value_kind:     hidden_block_count_z
      - .offset:         36
        .size:           2
        .value_kind:     hidden_group_size_x
      - .offset:         38
        .size:           2
        .value_kind:     hidden_group_size_y
      - .offset:         40
        .size:           2
        .value_kind:     hidden_group_size_z
      - .offset:         42
        .size:           2
        .value_kind:     hidden_remainder_x
      - .offset:         44
        .size:           2
        .value_kind:     hidden_remainder_y
      - .offset:         46
        .size:           2
        .value_kind:     hidden_remainder_z
      - .offset:         64
        .size:           8
        .value_kind:     hidden_global_offset_x
      - .offset:         72
        .size:           8
        .value_kind:     hidden_global_offset_y
      - .offset:         80
        .size:           8
        .value_kind:     hidden_global_offset_z
      - .offset:         88
        .size:           2
        .value_kind:     hidden_grid_dims
    .group_segment_fixed_size: 0
    .kernarg_segment_align: 8
    .kernarg_segment_size: 280
    .language:       OpenCL C
    .language_version:
      - 2
      - 0
    .max_flat_workgroup_size: 1024
    .name:           _Z5grid2iPKdPd
    .private_segment_fixed_size: 0
    .sgpr_count:     14
    .sgpr_spill_count: 0
    .symbol:         _Z5grid2iPKdPd.kd
    .uniform_work_group_size: 1
    .uses_dynamic_stack: false
    .vgpr_count:     22
    .vgpr_spill_count: 0
    .wavefront_size: 64
  - .args:
      - .offset:         0
        .size:           4
        .value_kind:     by_value
      - .address_space:  global
        .offset:         8
        .size:           8
        .value_kind:     global_buffer
      - .address_space:  global
        .offset:         16
        .size:           8
        .value_kind:     global_buffer
      - .offset:         24
        .size:           4
        .value_kind:     hidden_block_count_x
      - .offset:         28
        .size:           4
        .value_kind:     hidden_block_count_y
      - .offset:         32
        .size:           4
        .value_kind:     hidden_block_count_z
      - .offset:         36
        .size:           2
        .value_kind:     hidden_group_size_x
      - .offset:         38
        .size:           2
        .value_kind:     hidden_group_size_y
      - .offset:         40
        .size:           2
        .value_kind:     hidden_group_size_z
      - .offset:         42
        .size:           2
        .value_kind:     hidden_remainder_x
      - .offset:         44
        .size:           2
        .value_kind:     hidden_remainder_y
      - .offset:         46
        .size:           2
        .value_kind:     hidden_remainder_z
      - .offset:         64
        .size:           8
        .value_kind:     hidden_global_offset_x
      - .offset:         72
        .size:           8
        .value_kind:     hidden_global_offset_y
      - .offset:         80
        .size:           8
        .value_kind:     hidden_global_offset_z
      - .offset:         88
        .size:           2
        .value_kind:     hidden_grid_dims
    .group_segment_fixed_size: 0
    .kernarg_segment_align: 8
    .kernarg_segment_size: 280
    .language:       OpenCL C
    .language_version:
      - 2
      - 0
    .max_flat_workgroup_size: 1024
    .name:           _Z5grid3iPKdPd
    .private_segment_fixed_size: 0
    .sgpr_count:     18
    .sgpr_spill_count: 0
    .symbol:         _Z5grid3iPKdPd.kd
    .uniform_work_group_size: 1
    .uses_dynamic_stack: false
    .vgpr_count:     41
    .vgpr_spill_count: 0
    .wavefront_size: 64
  - .args:
      - .offset:         0
        .size:           4
        .value_kind:     by_value
      - .address_space:  global
        .offset:         8
        .size:           8
        .value_kind:     global_buffer
      - .address_space:  global
        .offset:         16
        .size:           8
        .value_kind:     global_buffer
      - .offset:         24
        .size:           4
        .value_kind:     hidden_block_count_x
      - .offset:         28
        .size:           4
        .value_kind:     hidden_block_count_y
      - .offset:         32
        .size:           4
        .value_kind:     hidden_block_count_z
      - .offset:         36
        .size:           2
        .value_kind:     hidden_group_size_x
      - .offset:         38
        .size:           2
        .value_kind:     hidden_group_size_y
      - .offset:         40
        .size:           2
        .value_kind:     hidden_group_size_z
      - .offset:         42
        .size:           2
        .value_kind:     hidden_remainder_x
      - .offset:         44
        .size:           2
        .value_kind:     hidden_remainder_y
      - .offset:         46
        .size:           2
        .value_kind:     hidden_remainder_z
      - .offset:         64
        .size:           8
        .value_kind:     hidden_global_offset_x
      - .offset:         72
        .size:           8
        .value_kind:     hidden_global_offset_y
      - .offset:         80
        .size:           8
        .value_kind:     hidden_global_offset_z
      - .offset:         88
        .size:           2
        .value_kind:     hidden_grid_dims
    .group_segment_fixed_size: 0
    .kernarg_segment_align: 8
    .kernarg_segment_size: 280
    .language:       OpenCL C
    .language_version:
      - 2
      - 0
    .max_flat_workgroup_size: 1024
    .name:           _Z5grid4iPKdPd
    .private_segment_fixed_size: 0
    .sgpr_count:     22
    .sgpr_spill_count: 0
    .symbol:         _Z5grid4iPKdPd.kd
    .uniform_work_group_size: 1
    .uses_dynamic_stack: false
    .vgpr_count:     58
    .vgpr_spill_count: 0
    .wavefront_size: 64
  - .args:
      - .offset:         0
        .size:           4
        .value_kind:     by_value
      - .address_space:  global
        .offset:         8
        .size:           8
        .value_kind:     global_buffer
      - .address_space:  global
        .offset:         16
        .size:           8
        .value_kind:     global_buffer
      - .offset:         24
        .size:           4
        .value_kind:     hidden_block_count_x
      - .offset:         28
        .size:           4
        .value_kind:     hidden_block_count_y
      - .offset:         32
        .size:           4
        .value_kind:     hidden_block_count_z
      - .offset:         36
        .size:           2
        .value_kind:     hidden_group_size_x
      - .offset:         38
        .size:           2
        .value_kind:     hidden_group_size_y
      - .offset:         40
        .size:           2
        .value_kind:     hidden_group_size_z
      - .offset:         42
        .size:           2
        .value_kind:     hidden_remainder_x
      - .offset:         44
        .size:           2
        .value_kind:     hidden_remainder_y
      - .offset:         46
        .size:           2
        .value_kind:     hidden_remainder_z
      - .offset:         64
        .size:           8
        .value_kind:     hidden_global_offset_x
      - .offset:         72
        .size:           8
        .value_kind:     hidden_global_offset_y
      - .offset:         80
        .size:           8
        .value_kind:     hidden_global_offset_z
      - .offset:         88
        .size:           2
        .value_kind:     hidden_grid_dims
    .group_segment_fixed_size: 0
    .kernarg_segment_align: 8
    .kernarg_segment_size: 280
    .language:       OpenCL C
    .language_version:
      - 2
      - 0
    .max_flat_workgroup_size: 1024
    .name:           _Z5grid5iPKdPd
    .private_segment_fixed_size: 32
    .sgpr_count:     32
    .sgpr_spill_count: 0
    .symbol:         _Z5grid5iPKdPd.kd
    .uniform_work_group_size: 1
    .uses_dynamic_stack: false
    .vgpr_count:     64
    .vgpr_spill_count: 7
    .wavefront_size: 64
  - .args:
      - .offset:         0
        .size:           4
        .value_kind:     by_value
      - .address_space:  global
        .offset:         8
        .size:           8
        .value_kind:     global_buffer
      - .address_space:  global
        .offset:         16
        .size:           8
        .value_kind:     global_buffer
    .group_segment_fixed_size: 0
    .kernarg_segment_align: 8
    .kernarg_segment_size: 24
    .language:       OpenCL C
    .language_version:
      - 2
      - 0
    .max_flat_workgroup_size: 1024
    .name:           _Z7nothingiPKdPd
    .private_segment_fixed_size: 0
    .sgpr_count:     4
    .sgpr_spill_count: 0
    .symbol:         _Z7nothingiPKdPd.kd
    .uniform_work_group_size: 1
    .uses_dynamic_stack: false
    .vgpr_count:     0
    .vgpr_spill_count: 0
    .wavefront_size: 64
  - .args:
      - .offset:         0
        .size:           4
        .value_kind:     by_value
      - .address_space:  global
        .offset:         8
        .size:           8
        .value_kind:     global_buffer
      - .offset:         16
        .size:           4
        .value_kind:     hidden_block_count_x
      - .offset:         20
        .size:           4
        .value_kind:     hidden_block_count_y
      - .offset:         24
        .size:           4
        .value_kind:     hidden_block_count_z
      - .offset:         28
        .size:           2
        .value_kind:     hidden_group_size_x
      - .offset:         30
        .size:           2
        .value_kind:     hidden_group_size_y
      - .offset:         32
        .size:           2
        .value_kind:     hidden_group_size_z
      - .offset:         34
        .size:           2
        .value_kind:     hidden_remainder_x
      - .offset:         36
        .size:           2
        .value_kind:     hidden_remainder_y
      - .offset:         38
        .size:           2
        .value_kind:     hidden_remainder_z
      - .offset:         56
        .size:           8
        .value_kind:     hidden_global_offset_x
      - .offset:         64
        .size:           8
        .value_kind:     hidden_global_offset_y
      - .offset:         72
        .size:           8
        .value_kind:     hidden_global_offset_z
      - .offset:         80
        .size:           2
        .value_kind:     hidden_grid_dims
    .group_segment_fixed_size: 0
    .kernarg_segment_align: 8
    .kernarg_segment_size: 272
    .language:       OpenCL C
    .language_version:
      - 2
      - 0
    .max_flat_workgroup_size: 1024
    .name:           _Z3addiPd
    .private_segment_fixed_size: 0
    .sgpr_count:     12
    .sgpr_spill_count: 0
    .symbol:         _Z3addiPd.kd
    .uniform_work_group_size: 1
    .uses_dynamic_stack: false
    .vgpr_count:     4
    .vgpr_spill_count: 0
    .wavefront_size: 64
amdhsa.target:   amdgcn-amd-amdhsa--gfx906
amdhsa.version:
  - 1
  - 2
...

	.end_amdgpu_metadata
